;; amdgpu-corpus repo=ROCm/rocFFT kind=compiled arch=gfx906 opt=O3
	.text
	.amdgcn_target "amdgcn-amd-amdhsa--gfx906"
	.amdhsa_code_object_version 6
	.protected	fft_rtc_back_len1650_factors_11_2_3_5_5_wgs_110_tpt_110_halfLds_sp_op_CI_CI_unitstride_sbrr_C2R_dirReg ; -- Begin function fft_rtc_back_len1650_factors_11_2_3_5_5_wgs_110_tpt_110_halfLds_sp_op_CI_CI_unitstride_sbrr_C2R_dirReg
	.globl	fft_rtc_back_len1650_factors_11_2_3_5_5_wgs_110_tpt_110_halfLds_sp_op_CI_CI_unitstride_sbrr_C2R_dirReg
	.p2align	8
	.type	fft_rtc_back_len1650_factors_11_2_3_5_5_wgs_110_tpt_110_halfLds_sp_op_CI_CI_unitstride_sbrr_C2R_dirReg,@function
fft_rtc_back_len1650_factors_11_2_3_5_5_wgs_110_tpt_110_halfLds_sp_op_CI_CI_unitstride_sbrr_C2R_dirReg: ; @fft_rtc_back_len1650_factors_11_2_3_5_5_wgs_110_tpt_110_halfLds_sp_op_CI_CI_unitstride_sbrr_C2R_dirReg
; %bb.0:
	s_load_dwordx4 s[8:11], s[4:5], 0x58
	s_load_dwordx4 s[12:15], s[4:5], 0x0
	;; [unrolled: 1-line block ×3, first 2 shown]
	v_mul_u32_u24_e32 v1, 0x254, v0
	v_add_u32_sdwa v5, s6, v1 dst_sel:DWORD dst_unused:UNUSED_PAD src0_sel:DWORD src1_sel:WORD_1
	v_mov_b32_e32 v3, 0
	s_waitcnt lgkmcnt(0)
	v_cmp_lt_u64_e64 s[0:1], s[14:15], 2
	v_mov_b32_e32 v1, 0
	v_mov_b32_e32 v6, v3
	s_and_b64 vcc, exec, s[0:1]
	v_mov_b32_e32 v2, 0
	s_cbranch_vccnz .LBB0_8
; %bb.1:
	s_load_dwordx2 s[0:1], s[4:5], 0x10
	s_add_u32 s2, s18, 8
	s_addc_u32 s3, s19, 0
	s_add_u32 s6, s16, 8
	v_mov_b32_e32 v1, 0
	s_addc_u32 s7, s17, 0
	v_mov_b32_e32 v2, 0
	s_waitcnt lgkmcnt(0)
	s_add_u32 s20, s0, 8
	v_mov_b32_e32 v45, v2
	s_addc_u32 s21, s1, 0
	s_mov_b64 s[22:23], 1
	v_mov_b32_e32 v44, v1
.LBB0_2:                                ; =>This Inner Loop Header: Depth=1
	s_load_dwordx2 s[24:25], s[20:21], 0x0
                                        ; implicit-def: $vgpr48_vgpr49
	s_waitcnt lgkmcnt(0)
	v_or_b32_e32 v4, s25, v6
	v_cmp_ne_u64_e32 vcc, 0, v[3:4]
	s_and_saveexec_b64 s[0:1], vcc
	s_xor_b64 s[26:27], exec, s[0:1]
	s_cbranch_execz .LBB0_4
; %bb.3:                                ;   in Loop: Header=BB0_2 Depth=1
	v_cvt_f32_u32_e32 v4, s24
	v_cvt_f32_u32_e32 v7, s25
	s_sub_u32 s0, 0, s24
	s_subb_u32 s1, 0, s25
	v_mac_f32_e32 v4, 0x4f800000, v7
	v_rcp_f32_e32 v4, v4
	v_mul_f32_e32 v4, 0x5f7ffffc, v4
	v_mul_f32_e32 v7, 0x2f800000, v4
	v_trunc_f32_e32 v7, v7
	v_mac_f32_e32 v4, 0xcf800000, v7
	v_cvt_u32_f32_e32 v7, v7
	v_cvt_u32_f32_e32 v4, v4
	v_mul_lo_u32 v8, s0, v7
	v_mul_hi_u32 v9, s0, v4
	v_mul_lo_u32 v11, s1, v4
	v_mul_lo_u32 v10, s0, v4
	v_add_u32_e32 v8, v9, v8
	v_add_u32_e32 v8, v8, v11
	v_mul_hi_u32 v9, v4, v10
	v_mul_lo_u32 v11, v4, v8
	v_mul_hi_u32 v13, v4, v8
	v_mul_hi_u32 v12, v7, v10
	v_mul_lo_u32 v10, v7, v10
	v_mul_hi_u32 v14, v7, v8
	v_add_co_u32_e32 v9, vcc, v9, v11
	v_addc_co_u32_e32 v11, vcc, 0, v13, vcc
	v_mul_lo_u32 v8, v7, v8
	v_add_co_u32_e32 v9, vcc, v9, v10
	v_addc_co_u32_e32 v9, vcc, v11, v12, vcc
	v_addc_co_u32_e32 v10, vcc, 0, v14, vcc
	v_add_co_u32_e32 v8, vcc, v9, v8
	v_addc_co_u32_e32 v9, vcc, 0, v10, vcc
	v_add_co_u32_e32 v4, vcc, v4, v8
	v_addc_co_u32_e32 v7, vcc, v7, v9, vcc
	v_mul_lo_u32 v8, s0, v7
	v_mul_hi_u32 v9, s0, v4
	v_mul_lo_u32 v10, s1, v4
	v_mul_lo_u32 v11, s0, v4
	v_add_u32_e32 v8, v9, v8
	v_add_u32_e32 v8, v8, v10
	v_mul_lo_u32 v12, v4, v8
	v_mul_hi_u32 v13, v4, v11
	v_mul_hi_u32 v14, v4, v8
	v_mul_hi_u32 v10, v7, v11
	v_mul_lo_u32 v11, v7, v11
	v_mul_hi_u32 v9, v7, v8
	v_add_co_u32_e32 v12, vcc, v13, v12
	v_addc_co_u32_e32 v13, vcc, 0, v14, vcc
	v_mul_lo_u32 v8, v7, v8
	v_add_co_u32_e32 v11, vcc, v12, v11
	v_addc_co_u32_e32 v10, vcc, v13, v10, vcc
	v_addc_co_u32_e32 v9, vcc, 0, v9, vcc
	v_add_co_u32_e32 v8, vcc, v10, v8
	v_addc_co_u32_e32 v9, vcc, 0, v9, vcc
	v_add_co_u32_e32 v4, vcc, v4, v8
	v_addc_co_u32_e32 v9, vcc, v7, v9, vcc
	v_mad_u64_u32 v[7:8], s[0:1], v5, v9, 0
	v_mul_hi_u32 v10, v5, v4
	v_add_co_u32_e32 v11, vcc, v10, v7
	v_addc_co_u32_e32 v12, vcc, 0, v8, vcc
	v_mad_u64_u32 v[7:8], s[0:1], v6, v4, 0
	v_mad_u64_u32 v[9:10], s[0:1], v6, v9, 0
	v_add_co_u32_e32 v4, vcc, v11, v7
	v_addc_co_u32_e32 v4, vcc, v12, v8, vcc
	v_addc_co_u32_e32 v7, vcc, 0, v10, vcc
	v_add_co_u32_e32 v4, vcc, v4, v9
	v_addc_co_u32_e32 v9, vcc, 0, v7, vcc
	v_mul_lo_u32 v10, s25, v4
	v_mul_lo_u32 v11, s24, v9
	v_mad_u64_u32 v[7:8], s[0:1], s24, v4, 0
	v_add3_u32 v8, v8, v11, v10
	v_sub_u32_e32 v10, v6, v8
	v_mov_b32_e32 v11, s25
	v_sub_co_u32_e32 v7, vcc, v5, v7
	v_subb_co_u32_e64 v10, s[0:1], v10, v11, vcc
	v_subrev_co_u32_e64 v11, s[0:1], s24, v7
	v_subbrev_co_u32_e64 v10, s[0:1], 0, v10, s[0:1]
	v_cmp_le_u32_e64 s[0:1], s25, v10
	v_cndmask_b32_e64 v12, 0, -1, s[0:1]
	v_cmp_le_u32_e64 s[0:1], s24, v11
	v_cndmask_b32_e64 v11, 0, -1, s[0:1]
	v_cmp_eq_u32_e64 s[0:1], s25, v10
	v_cndmask_b32_e64 v10, v12, v11, s[0:1]
	v_add_co_u32_e64 v11, s[0:1], 2, v4
	v_addc_co_u32_e64 v12, s[0:1], 0, v9, s[0:1]
	v_add_co_u32_e64 v13, s[0:1], 1, v4
	v_addc_co_u32_e64 v14, s[0:1], 0, v9, s[0:1]
	v_subb_co_u32_e32 v8, vcc, v6, v8, vcc
	v_cmp_ne_u32_e64 s[0:1], 0, v10
	v_cmp_le_u32_e32 vcc, s25, v8
	v_cndmask_b32_e64 v10, v14, v12, s[0:1]
	v_cndmask_b32_e64 v12, 0, -1, vcc
	v_cmp_le_u32_e32 vcc, s24, v7
	v_cndmask_b32_e64 v7, 0, -1, vcc
	v_cmp_eq_u32_e32 vcc, s25, v8
	v_cndmask_b32_e32 v7, v12, v7, vcc
	v_cmp_ne_u32_e32 vcc, 0, v7
	v_cndmask_b32_e64 v7, v13, v11, s[0:1]
	v_cndmask_b32_e32 v49, v9, v10, vcc
	v_cndmask_b32_e32 v48, v4, v7, vcc
.LBB0_4:                                ;   in Loop: Header=BB0_2 Depth=1
	s_andn2_saveexec_b64 s[0:1], s[26:27]
	s_cbranch_execz .LBB0_6
; %bb.5:                                ;   in Loop: Header=BB0_2 Depth=1
	v_cvt_f32_u32_e32 v4, s24
	s_sub_i32 s26, 0, s24
	v_mov_b32_e32 v49, v3
	v_rcp_iflag_f32_e32 v4, v4
	v_mul_f32_e32 v4, 0x4f7ffffe, v4
	v_cvt_u32_f32_e32 v4, v4
	v_mul_lo_u32 v7, s26, v4
	v_mul_hi_u32 v7, v4, v7
	v_add_u32_e32 v4, v4, v7
	v_mul_hi_u32 v4, v5, v4
	v_mul_lo_u32 v7, v4, s24
	v_add_u32_e32 v8, 1, v4
	v_sub_u32_e32 v7, v5, v7
	v_subrev_u32_e32 v9, s24, v7
	v_cmp_le_u32_e32 vcc, s24, v7
	v_cndmask_b32_e32 v7, v7, v9, vcc
	v_cndmask_b32_e32 v4, v4, v8, vcc
	v_add_u32_e32 v8, 1, v4
	v_cmp_le_u32_e32 vcc, s24, v7
	v_cndmask_b32_e32 v48, v4, v8, vcc
.LBB0_6:                                ;   in Loop: Header=BB0_2 Depth=1
	s_or_b64 exec, exec, s[0:1]
	v_mul_lo_u32 v4, v49, s24
	v_mul_lo_u32 v9, v48, s25
	v_mad_u64_u32 v[7:8], s[0:1], v48, s24, 0
	s_load_dwordx2 s[0:1], s[6:7], 0x0
	s_load_dwordx2 s[24:25], s[2:3], 0x0
	v_add3_u32 v4, v8, v9, v4
	v_sub_co_u32_e32 v5, vcc, v5, v7
	v_subb_co_u32_e32 v4, vcc, v6, v4, vcc
	s_waitcnt lgkmcnt(0)
	v_mul_lo_u32 v6, s0, v4
	v_mul_lo_u32 v7, s1, v5
	v_mad_u64_u32 v[1:2], s[0:1], s0, v5, v[1:2]
	v_mul_lo_u32 v4, s24, v4
	v_mul_lo_u32 v8, s25, v5
	v_mad_u64_u32 v[44:45], s[0:1], s24, v5, v[44:45]
	s_add_u32 s22, s22, 1
	s_addc_u32 s23, s23, 0
	s_add_u32 s2, s2, 8
	v_add3_u32 v45, v8, v45, v4
	s_addc_u32 s3, s3, 0
	v_mov_b32_e32 v4, s14
	s_add_u32 s6, s6, 8
	v_mov_b32_e32 v5, s15
	s_addc_u32 s7, s7, 0
	v_cmp_ge_u64_e32 vcc, s[22:23], v[4:5]
	s_add_u32 s20, s20, 8
	v_add3_u32 v2, v7, v2, v6
	s_addc_u32 s21, s21, 0
	s_cbranch_vccnz .LBB0_9
; %bb.7:                                ;   in Loop: Header=BB0_2 Depth=1
	v_mov_b32_e32 v5, v48
	v_mov_b32_e32 v6, v49
	s_branch .LBB0_2
.LBB0_8:
	v_mov_b32_e32 v45, v2
	v_mov_b32_e32 v49, v6
	;; [unrolled: 1-line block ×4, first 2 shown]
.LBB0_9:
	s_load_dwordx2 s[2:3], s[4:5], 0x28
	s_lshl_b64 s[6:7], s[14:15], 3
	s_add_u32 s4, s18, s6
	s_addc_u32 s5, s19, s7
                                        ; implicit-def: $vgpr46
	s_waitcnt lgkmcnt(0)
	v_cmp_gt_u64_e64 s[0:1], s[2:3], v[48:49]
	v_cmp_le_u64_e32 vcc, s[2:3], v[48:49]
	s_and_saveexec_b64 s[2:3], vcc
	s_xor_b64 s[2:3], exec, s[2:3]
; %bb.10:
	s_mov_b32 s14, 0x253c826
	v_mul_hi_u32 v1, v0, s14
	v_mul_u32_u24_e32 v1, 0x6e, v1
	v_sub_u32_e32 v46, v0, v1
                                        ; implicit-def: $vgpr0
                                        ; implicit-def: $vgpr1_vgpr2
; %bb.11:
	s_or_saveexec_b64 s[2:3], s[2:3]
	s_load_dwordx2 s[4:5], s[4:5], 0x0
	s_xor_b64 exec, exec, s[2:3]
	s_cbranch_execz .LBB0_15
; %bb.12:
	s_add_u32 s6, s16, s6
	s_addc_u32 s7, s17, s7
	s_load_dwordx2 s[6:7], s[6:7], 0x0
	s_mov_b32 s14, 0x253c826
	v_mul_hi_u32 v5, v0, s14
	v_lshlrev_b64 v[1:2], 3, v[1:2]
	s_waitcnt lgkmcnt(0)
	v_mul_lo_u32 v6, s7, v48
	v_mul_lo_u32 v7, s6, v49
	v_mad_u64_u32 v[3:4], s[6:7], s6, v48, 0
	v_mul_u32_u24_e32 v5, 0x6e, v5
	v_sub_u32_e32 v46, v0, v5
	v_add3_u32 v4, v4, v7, v6
	v_lshlrev_b64 v[3:4], 3, v[3:4]
	v_mov_b32_e32 v0, s9
	v_add_co_u32_e32 v3, vcc, s8, v3
	v_addc_co_u32_e32 v0, vcc, v0, v4, vcc
	v_add_co_u32_e32 v1, vcc, v3, v1
	v_addc_co_u32_e32 v0, vcc, v0, v2, vcc
	v_lshlrev_b32_e32 v38, 3, v46
	v_add_co_u32_e32 v2, vcc, v1, v38
	v_addc_co_u32_e32 v3, vcc, 0, v0, vcc
	s_movk_i32 s6, 0x1000
	v_add_co_u32_e32 v6, vcc, s6, v2
	v_addc_co_u32_e32 v7, vcc, 0, v3, vcc
	s_movk_i32 s6, 0x2000
	v_add_co_u32_e32 v22, vcc, s6, v2
	v_addc_co_u32_e32 v23, vcc, 0, v3, vcc
	global_load_dwordx2 v[4:5], v[2:3], off offset:2640
	global_load_dwordx2 v[8:9], v[2:3], off offset:3520
	;; [unrolled: 1-line block ×5, first 2 shown]
	global_load_dwordx2 v[16:17], v[2:3], off
	global_load_dwordx2 v[18:19], v[2:3], off offset:1760
	global_load_dwordx2 v[20:21], v[2:3], off offset:880
	v_add_co_u32_e32 v2, vcc, 0x3000, v2
	v_addc_co_u32_e32 v3, vcc, 0, v3, vcc
	global_load_dwordx2 v[24:25], v[6:7], off offset:2944
	global_load_dwordx2 v[26:27], v[6:7], off offset:3824
	;; [unrolled: 1-line block ×7, first 2 shown]
	s_movk_i32 s6, 0x6d
	v_add_u32_e32 v2, 0, v38
	v_add_u32_e32 v3, 0x400, v2
	v_cmp_eq_u32_e32 vcc, s6, v46
	v_add_u32_e32 v6, 0xc00, v2
	v_add_u32_e32 v7, 0x1400, v2
	v_add_u32_e32 v22, 0x1800, v2
	v_add_u32_e32 v23, 0x2000, v2
	v_add_u32_e32 v38, 0x2800, v2
	s_waitcnt vmcnt(8)
	ds_write2_b64 v3, v[18:19], v[4:5] offset0:92 offset1:202
	s_waitcnt vmcnt(7)
	ds_write2_b64 v2, v[16:17], v[20:21] offset1:110
	ds_write2_b64 v6, v[8:9], v[10:11] offset0:56 offset1:166
	ds_write2_b64 v7, v[12:13], v[14:15] offset0:20 offset1:130
	s_waitcnt vmcnt(5)
	ds_write2_b64 v22, v[24:25], v[26:27] offset0:112 offset1:222
	s_waitcnt vmcnt(3)
	;; [unrolled: 2-line block ×4, first 2 shown]
	ds_write_b64 v2, v[36:37] offset:12320
	s_and_saveexec_b64 s[6:7], vcc
	s_cbranch_execz .LBB0_14
; %bb.13:
	v_add_co_u32_e32 v1, vcc, 0x3000, v1
	v_addc_co_u32_e32 v2, vcc, 0, v0, vcc
	global_load_dwordx2 v[0:1], v[1:2], off offset:912
	v_mov_b32_e32 v2, 0
	v_mov_b32_e32 v46, 0x6d
	s_waitcnt vmcnt(0)
	ds_write_b64 v2, v[0:1] offset:13200
.LBB0_14:
	s_or_b64 exec, exec, s[6:7]
.LBB0_15:
	s_or_b64 exec, exec, s[2:3]
	v_lshlrev_b32_e32 v0, 3, v46
	v_add_u32_e32 v50, 0, v0
	s_waitcnt lgkmcnt(0)
	s_barrier
	v_sub_u32_e32 v4, 0, v0
	ds_read_b32 v5, v50
	ds_read_b32 v6, v4 offset:13200
	s_add_u32 s6, s12, 0x3338
	s_addc_u32 s7, s13, 0
	v_cmp_ne_u32_e32 vcc, 0, v46
                                        ; implicit-def: $vgpr0_vgpr1
	s_waitcnt lgkmcnt(0)
	v_add_f32_e32 v2, v6, v5
	v_sub_f32_e32 v3, v5, v6
	s_and_saveexec_b64 s[2:3], vcc
	s_xor_b64 s[2:3], exec, s[2:3]
	s_cbranch_execz .LBB0_17
; %bb.16:
	v_mov_b32_e32 v47, 0
	v_lshlrev_b64 v[0:1], 3, v[46:47]
	v_mov_b32_e32 v2, s7
	v_add_co_u32_e32 v0, vcc, s6, v0
	v_addc_co_u32_e32 v1, vcc, v2, v1, vcc
	global_load_dwordx2 v[0:1], v[0:1], off
	ds_read_b32 v2, v4 offset:13204
	ds_read_b32 v3, v50 offset:4
	v_add_f32_e32 v7, v6, v5
	v_sub_f32_e32 v8, v5, v6
	s_waitcnt lgkmcnt(0)
	v_add_f32_e32 v9, v2, v3
	v_sub_f32_e32 v2, v3, v2
	s_waitcnt vmcnt(0)
	v_fma_f32 v10, v8, v1, v7
	v_fma_f32 v3, v9, v1, v2
	v_fma_f32 v5, -v8, v1, v7
	v_fma_f32 v6, v9, v1, -v2
	v_fma_f32 v2, -v0, v9, v10
	v_fmac_f32_e32 v3, v8, v0
	v_fmac_f32_e32 v5, v0, v9
	;; [unrolled: 1-line block ×3, first 2 shown]
	v_mov_b32_e32 v0, v46
	ds_write_b64 v4, v[5:6] offset:13200
	v_mov_b32_e32 v1, v47
.LBB0_17:
	s_andn2_saveexec_b64 s[2:3], s[2:3]
	s_cbranch_execz .LBB0_19
; %bb.18:
	v_mov_b32_e32 v7, 0
	ds_read_b64 v[0:1], v7 offset:6600
	s_waitcnt lgkmcnt(0)
	v_add_f32_e32 v5, v0, v0
	v_mul_f32_e32 v6, -2.0, v1
	v_mov_b32_e32 v0, 0
	v_mov_b32_e32 v1, 0
	ds_write_b64 v7, v[5:6] offset:6600
.LBB0_19:
	s_or_b64 exec, exec, s[2:3]
	v_lshlrev_b64 v[0:1], 3, v[0:1]
	v_mov_b32_e32 v5, s7
	v_add_co_u32_e32 v0, vcc, s6, v0
	v_addc_co_u32_e32 v1, vcc, v5, v1, vcc
	global_load_dwordx2 v[5:6], v[0:1], off offset:880
	global_load_dwordx2 v[7:8], v[0:1], off offset:1760
	;; [unrolled: 1-line block ×4, first 2 shown]
	s_movk_i32 s2, 0x1000
	v_add_co_u32_e32 v15, vcc, s2, v0
	ds_write_b64 v50, v[2:3]
	v_addc_co_u32_e32 v16, vcc, 0, v1, vcc
	ds_read_b64 v[2:3], v50 offset:880
	ds_read_b64 v[13:14], v4 offset:12320
	global_load_dwordx2 v[17:18], v[15:16], off offset:304
	v_cmp_gt_u32_e64 s[2:3], 55, v46
	s_waitcnt lgkmcnt(0)
	v_add_f32_e32 v19, v2, v13
	v_add_f32_e32 v20, v14, v3
	v_sub_f32_e32 v21, v2, v13
	v_sub_f32_e32 v2, v3, v14
	s_waitcnt vmcnt(4)
	v_fma_f32 v22, v21, v6, v19
	v_fma_f32 v3, v20, v6, v2
	v_fma_f32 v13, -v21, v6, v19
	v_fma_f32 v14, v20, v6, -v2
	v_fma_f32 v2, -v5, v20, v22
	v_fmac_f32_e32 v3, v21, v5
	v_fmac_f32_e32 v13, v5, v20
	;; [unrolled: 1-line block ×3, first 2 shown]
	ds_write_b64 v50, v[2:3] offset:880
	ds_write_b64 v4, v[13:14] offset:12320
	ds_read_b64 v[2:3], v50 offset:1760
	ds_read_b64 v[5:6], v4 offset:11440
	global_load_dwordx2 v[13:14], v[15:16], off offset:1184
	s_waitcnt lgkmcnt(0)
	v_add_f32_e32 v15, v2, v5
	v_add_f32_e32 v16, v6, v3
	v_sub_f32_e32 v19, v2, v5
	v_sub_f32_e32 v2, v3, v6
	s_waitcnt vmcnt(4)
	v_fma_f32 v20, v19, v8, v15
	v_fma_f32 v3, v16, v8, v2
	v_fma_f32 v5, -v19, v8, v15
	v_fma_f32 v6, v16, v8, -v2
	v_fma_f32 v2, -v7, v16, v20
	v_fmac_f32_e32 v3, v19, v7
	v_fmac_f32_e32 v5, v7, v16
	v_fmac_f32_e32 v6, v19, v7
	ds_write_b64 v50, v[2:3] offset:1760
	ds_write_b64 v4, v[5:6] offset:11440
	ds_read_b64 v[2:3], v50 offset:2640
	ds_read_b64 v[5:6], v4 offset:10560
	s_waitcnt lgkmcnt(0)
	v_add_f32_e32 v7, v2, v5
	v_add_f32_e32 v8, v6, v3
	v_sub_f32_e32 v15, v2, v5
	v_sub_f32_e32 v2, v3, v6
	s_waitcnt vmcnt(3)
	v_fma_f32 v16, v15, v10, v7
	v_fma_f32 v3, v8, v10, v2
	v_fma_f32 v5, -v15, v10, v7
	v_fma_f32 v6, v8, v10, -v2
	v_fma_f32 v2, -v9, v8, v16
	v_fmac_f32_e32 v3, v15, v9
	v_fmac_f32_e32 v5, v9, v8
	v_fmac_f32_e32 v6, v15, v9
	ds_write_b64 v50, v[2:3] offset:2640
	ds_write_b64 v4, v[5:6] offset:10560
	ds_read_b64 v[2:3], v50 offset:3520
	ds_read_b64 v[5:6], v4 offset:9680
	;; [unrolled: 18-line block ×4, first 2 shown]
	s_waitcnt lgkmcnt(0)
	v_add_f32_e32 v7, v2, v5
	v_add_f32_e32 v8, v6, v3
	v_sub_f32_e32 v9, v2, v5
	v_sub_f32_e32 v2, v3, v6
	s_waitcnt vmcnt(0)
	v_fma_f32 v10, v9, v14, v7
	v_fma_f32 v3, v8, v14, v2
	v_fma_f32 v5, -v9, v14, v7
	v_fma_f32 v6, v8, v14, -v2
	v_fma_f32 v2, -v13, v8, v10
	v_fmac_f32_e32 v3, v9, v13
	v_fmac_f32_e32 v5, v13, v8
	;; [unrolled: 1-line block ×3, first 2 shown]
	ds_write_b64 v50, v[2:3] offset:5280
	ds_write_b64 v4, v[5:6] offset:7920
	s_and_saveexec_b64 s[6:7], s[2:3]
	s_cbranch_execz .LBB0_21
; %bb.20:
	v_add_co_u32_e32 v0, vcc, 0x1000, v0
	v_addc_co_u32_e32 v1, vcc, 0, v1, vcc
	global_load_dwordx2 v[0:1], v[0:1], off offset:2064
	ds_read_b64 v[2:3], v50 offset:6160
	ds_read_b64 v[5:6], v4 offset:7040
	s_waitcnt lgkmcnt(0)
	v_add_f32_e32 v7, v2, v5
	v_add_f32_e32 v8, v6, v3
	v_sub_f32_e32 v9, v2, v5
	v_sub_f32_e32 v3, v3, v6
	s_waitcnt vmcnt(0)
	v_fma_f32 v10, v9, v1, v7
	v_fma_f32 v2, v8, v1, v3
	v_fma_f32 v5, -v9, v1, v7
	v_fma_f32 v6, v8, v1, -v3
	v_fma_f32 v1, -v0, v8, v10
	v_fmac_f32_e32 v2, v9, v0
	v_fmac_f32_e32 v5, v0, v8
	;; [unrolled: 1-line block ×3, first 2 shown]
	ds_write_b64 v50, v[1:2] offset:6160
	ds_write_b64 v4, v[5:6] offset:7040
.LBB0_21:
	s_or_b64 exec, exec, s[6:7]
	v_add_u32_e32 v47, 0x400, v50
	s_waitcnt lgkmcnt(0)
	s_barrier
	s_barrier
	ds_read2_b64 v[12:15], v47 offset0:22 offset1:132
	v_add_u32_e32 v0, 0x2c00, v50
	v_add_u32_e32 v8, 0x800, v50
	;; [unrolled: 1-line block ×3, first 2 shown]
	ds_read2_b64 v[4:7], v0 offset0:92 offset1:202
	ds_read2_b64 v[0:3], v50 offset1:110
	ds_read2_b64 v[16:19], v8 offset0:44 offset1:154
	ds_read2_b64 v[8:11], v51 offset0:70 offset1:180
	v_add_u32_e32 v52, 0xc00, v50
	s_waitcnt lgkmcnt(3)
	v_sub_f32_e32 v63, v13, v5
	v_mul_f32_e32 v56, 0xbf0a6770, v63
	v_add_f32_e32 v55, v4, v12
	s_waitcnt lgkmcnt(0)
	v_sub_f32_e32 v68, v17, v9
	v_mov_b32_e32 v20, v56
	v_mul_f32_e32 v58, 0xbf68dda4, v68
	v_fmac_f32_e32 v20, 0x3f575c64, v55
	v_add_f32_e32 v57, v8, v16
	v_mov_b32_e32 v21, v58
	v_add_f32_e32 v69, v5, v13
	v_add_f32_e32 v20, v0, v20
	v_fmac_f32_e32 v21, 0x3ed4b147, v57
	v_mul_f32_e32 v59, 0x3f575c64, v69
	v_add_f32_e32 v28, v21, v20
	v_sub_f32_e32 v60, v12, v4
	v_mov_b32_e32 v20, v59
	v_fmac_f32_e32 v20, 0x3f0a6770, v60
	v_add_f32_e32 v29, v1, v20
	v_add_u32_e32 v20, 0x2400, v50
	ds_read2_b64 v[20:23], v20 offset0:48 offset1:158
	ds_read2_b64 v[24:27], v52 offset0:66 offset1:176
	v_add_f32_e32 v70, v9, v17
	v_mul_f32_e32 v62, 0x3ed4b147, v70
	v_sub_f32_e32 v61, v16, v8
	v_mov_b32_e32 v30, v62
	s_waitcnt lgkmcnt(0)
	v_sub_f32_e32 v77, v25, v21
	v_fmac_f32_e32 v30, 0x3f68dda4, v61
	v_mul_f32_e32 v65, 0xbf7d64f0, v77
	v_add_f32_e32 v36, v30, v29
	v_add_f32_e32 v64, v20, v24
	v_mov_b32_e32 v29, v65
	v_fmac_f32_e32 v29, 0xbe11bafb, v64
	v_add_f32_e32 v37, v29, v28
	v_add_u32_e32 v28, 0x1000, v50
	v_add_u32_e32 v53, 0x2000, v50
	ds_read2_b64 v[32:35], v28 offset0:88 offset1:198
	ds_read2_b64 v[28:31], v53 offset0:26 offset1:136
	v_add_f32_e32 v78, v21, v25
	v_mul_f32_e32 v67, 0xbe11bafb, v78
	v_sub_f32_e32 v66, v24, v20
	v_mov_b32_e32 v38, v67
	s_waitcnt lgkmcnt(0)
	v_sub_f32_e32 v79, v33, v29
	v_fmac_f32_e32 v38, 0x3f7d64f0, v66
	v_mul_f32_e32 v72, 0xbf4178ce, v79
	v_add_f32_e32 v75, v38, v36
	v_add_f32_e32 v71, v28, v32
	v_mov_b32_e32 v36, v72
	v_fmac_f32_e32 v36, 0xbf27a4f4, v71
	v_add_f32_e32 v76, v36, v37
	v_add_u32_e32 v36, 0x1800, v50
	v_add_u32_e32 v54, 0x1400, v50
	ds_read2_b64 v[36:39], v36 offset0:132 offset1:242
	ds_read2_b64 v[40:43], v54 offset0:110 offset1:220
	v_add_f32_e32 v12, v0, v12
	v_add_f32_e32 v13, v1, v13
	v_add_f32_e32 v80, v29, v33
	v_add_f32_e32 v12, v12, v16
	v_add_f32_e32 v13, v13, v17
	v_mul_f32_e32 v74, 0xbf27a4f4, v80
	v_add_f32_e32 v12, v12, v24
	v_add_f32_e32 v13, v13, v25
	v_sub_f32_e32 v73, v32, v28
	v_mov_b32_e32 v81, v74
	s_waitcnt lgkmcnt(0)
	v_sub_f32_e32 v83, v41, v37
	v_add_f32_e32 v12, v12, v32
	v_add_f32_e32 v13, v13, v33
	v_fmac_f32_e32 v81, 0x3f4178ce, v73
	v_mul_f32_e32 v84, 0xbe903f40, v83
	v_add_f32_e32 v12, v12, v40
	v_add_f32_e32 v13, v13, v41
	;; [unrolled: 1-line block ×4, first 2 shown]
	v_mov_b32_e32 v75, v84
	v_add_f32_e32 v85, v37, v41
	v_add_f32_e32 v12, v12, v36
	;; [unrolled: 1-line block ×3, first 2 shown]
	v_fmac_f32_e32 v75, 0xbf75a155, v82
	v_mul_f32_e32 v87, 0xbf75a155, v85
	v_add_f32_e32 v12, v12, v28
	v_add_f32_e32 v13, v13, v29
	;; [unrolled: 1-line block ×3, first 2 shown]
	v_sub_f32_e32 v86, v40, v36
	v_mov_b32_e32 v76, v87
	v_add_f32_e32 v12, v12, v20
	v_add_f32_e32 v13, v13, v21
	v_fmac_f32_e32 v76, 0x3e903f40, v86
	v_add_f32_e32 v8, v12, v8
	v_add_f32_e32 v9, v13, v9
	s_movk_i32 s6, 0x58
	v_add_f32_e32 v76, v76, v81
	v_add_f32_e32 v4, v8, v4
	;; [unrolled: 1-line block ×3, first 2 shown]
	v_mad_u32_u24 v12, v46, s6, 0
	v_mul_f32_e32 v13, 0xbf68dda4, v63
	s_barrier
	ds_write2_b64 v12, v[4:5], v[75:76] offset1:1
	v_mov_b32_e32 v4, v13
	v_mul_f32_e32 v16, 0xbf4178ce, v68
	v_fmac_f32_e32 v4, 0x3ed4b147, v55
	v_mov_b32_e32 v5, v16
	v_add_f32_e32 v4, v0, v4
	v_fmac_f32_e32 v5, 0xbf27a4f4, v57
	v_mul_f32_e32 v17, 0x3ed4b147, v69
	v_add_f32_e32 v4, v5, v4
	v_mov_b32_e32 v5, v17
	v_mul_f32_e32 v20, 0xbf27a4f4, v70
	v_fmac_f32_e32 v5, 0x3f68dda4, v60
	v_mov_b32_e32 v8, v20
	v_add_f32_e32 v5, v1, v5
	v_fmac_f32_e32 v8, 0x3f4178ce, v61
	v_mul_f32_e32 v21, 0x3e903f40, v77
	v_add_f32_e32 v5, v8, v5
	v_mov_b32_e32 v8, v21
	v_fmac_f32_e32 v8, 0xbf75a155, v64
	v_mul_f32_e32 v24, 0xbf75a155, v78
	v_add_f32_e32 v4, v8, v4
	v_mov_b32_e32 v8, v24
	;; [unrolled: 4-line block ×7, first 2 shown]
	v_mul_f32_e32 v36, 0x3e903f40, v68
	v_fmac_f32_e32 v8, 0xbe11bafb, v55
	v_mov_b32_e32 v9, v36
	v_add_f32_e32 v8, v0, v8
	v_fmac_f32_e32 v9, 0xbf75a155, v57
	v_mul_f32_e32 v37, 0xbe11bafb, v69
	v_add_f32_e32 v8, v9, v8
	v_mov_b32_e32 v9, v37
	v_mul_f32_e32 v40, 0xbf75a155, v70
	v_fmac_f32_e32 v9, 0x3f7d64f0, v60
	v_mov_b32_e32 v41, v40
	v_add_f32_e32 v9, v1, v9
	v_fmac_f32_e32 v41, 0xbe903f40, v61
	v_add_f32_e32 v9, v41, v9
	v_mul_f32_e32 v41, 0x3f68dda4, v77
	v_mov_b32_e32 v75, v41
	v_fmac_f32_e32 v75, 0x3ed4b147, v64
	v_add_f32_e32 v8, v75, v8
	v_mul_f32_e32 v75, 0x3ed4b147, v78
	v_mov_b32_e32 v76, v75
	;; [unrolled: 4-line block ×6, first 2 shown]
	v_fmac_f32_e32 v90, 0x3f4178ce, v86
	v_add_f32_e32 v9, v90, v9
	v_mul_f32_e32 v90, 0xbf4178ce, v63
	ds_write2_b64 v12, v[4:5], v[8:9] offset0:2 offset1:3
	v_mov_b32_e32 v4, v90
	v_mul_f32_e32 v91, 0x3f7d64f0, v68
	v_fmac_f32_e32 v4, 0xbf27a4f4, v55
	v_mov_b32_e32 v5, v91
	v_add_f32_e32 v4, v0, v4
	v_fmac_f32_e32 v5, 0xbe11bafb, v57
	v_mul_f32_e32 v92, 0xbf27a4f4, v69
	v_add_f32_e32 v4, v5, v4
	v_mov_b32_e32 v5, v92
	v_mul_f32_e32 v93, 0xbe11bafb, v70
	v_fmac_f32_e32 v5, 0x3f4178ce, v60
	v_mov_b32_e32 v8, v93
	v_add_f32_e32 v5, v1, v5
	v_fmac_f32_e32 v8, 0xbf7d64f0, v61
	v_mul_f32_e32 v94, 0xbf0a6770, v77
	v_add_f32_e32 v5, v8, v5
	v_mov_b32_e32 v8, v94
	v_fmac_f32_e32 v8, 0x3f575c64, v64
	v_mul_f32_e32 v95, 0x3f575c64, v78
	v_add_f32_e32 v4, v8, v4
	v_mov_b32_e32 v8, v95
	;; [unrolled: 4-line block ×7, first 2 shown]
	v_mul_f32_e32 v68, 0x3f0a6770, v68
	v_fmac_f32_e32 v8, 0xbf75a155, v55
	v_mov_b32_e32 v9, v68
	v_add_f32_e32 v8, v0, v8
	v_fmac_f32_e32 v9, 0x3f575c64, v57
	v_mul_f32_e32 v69, 0xbf75a155, v69
	v_add_f32_e32 v8, v9, v8
	v_mov_b32_e32 v9, v69
	v_mul_f32_e32 v70, 0x3f575c64, v70
	v_fmac_f32_e32 v9, 0x3e903f40, v60
	v_mov_b32_e32 v100, v70
	v_add_f32_e32 v9, v1, v9
	v_fmac_f32_e32 v100, 0xbf0a6770, v61
	v_mul_f32_e32 v77, 0xbf4178ce, v77
	v_add_f32_e32 v9, v100, v9
	v_mov_b32_e32 v100, v77
	v_fmac_f32_e32 v100, 0xbf27a4f4, v64
	v_mul_f32_e32 v78, 0xbf27a4f4, v78
	v_add_f32_e32 v8, v100, v8
	v_mov_b32_e32 v100, v78
	;; [unrolled: 4-line block ×6, first 2 shown]
	v_fmac_f32_e32 v100, 0x3f7d64f0, v86
	v_add_f32_e32 v9, v100, v9
	s_mov_b32 s8, 0xbf27a4f4
	ds_write2_b64 v12, v[4:5], v[8:9] offset0:4 offset1:5
	s_mov_b32 s9, 0xbe11bafb
	v_fma_f32 v4, v55, s8, -v90
	v_add_f32_e32 v4, v0, v4
	v_fma_f32 v5, v57, s9, -v91
	s_mov_b32 s15, 0x3f575c64
	v_add_f32_e32 v4, v5, v4
	v_fma_f32 v8, v64, s15, -v94
	s_mov_b32 s14, 0xbf75a155
	;; [unrolled: 3-line block ×3, first 2 shown]
	v_add_f32_e32 v4, v8, v4
	v_fma_f32 v8, v82, s16, -v98
	v_add_f32_e32 v4, v8, v4
	v_fma_f32 v8, v55, s14, -v63
	v_fmac_f32_e32 v92, 0xbf4178ce, v60
	v_add_f32_e32 v8, v0, v8
	v_fma_f32 v9, v57, s15, -v68
	v_fmac_f32_e32 v69, 0xbe903f40, v60
	v_add_f32_e32 v5, v1, v92
	v_fmac_f32_e32 v93, 0x3f7d64f0, v61
	v_add_f32_e32 v8, v9, v8
	v_add_f32_e32 v9, v1, v69
	v_fmac_f32_e32 v70, 0x3f0a6770, v61
	v_add_f32_e32 v5, v93, v5
	v_fmac_f32_e32 v95, 0xbf0a6770, v66
	v_add_f32_e32 v9, v70, v9
	v_fma_f32 v63, v64, s8, -v77
	v_fmac_f32_e32 v78, 0xbf4178ce, v66
	v_add_f32_e32 v5, v95, v5
	v_fmac_f32_e32 v97, 0xbe903f40, v73
	v_add_f32_e32 v8, v63, v8
	v_add_f32_e32 v9, v78, v9
	v_fma_f32 v63, v71, s16, -v79
	v_fmac_f32_e32 v80, 0x3f68dda4, v73
	v_add_f32_e32 v5, v97, v5
	v_fmac_f32_e32 v99, 0x3f68dda4, v86
	v_add_f32_e32 v8, v63, v8
	v_add_f32_e32 v9, v80, v9
	v_fma_f32 v63, v82, s9, -v83
	v_fmac_f32_e32 v85, 0xbf7d64f0, v86
	v_add_f32_e32 v5, v99, v5
	v_add_f32_e32 v8, v63, v8
	;; [unrolled: 1-line block ×3, first 2 shown]
	ds_write2_b64 v12, v[8:9], v[4:5] offset0:6 offset1:7
	v_fma_f32 v4, v55, s16, -v13
	v_add_f32_e32 v4, v0, v4
	v_fma_f32 v5, v57, s8, -v16
	v_add_f32_e32 v4, v5, v4
	;; [unrolled: 2-line block ×5, first 2 shown]
	v_fma_f32 v8, v55, s9, -v33
	v_fmac_f32_e32 v17, 0xbf68dda4, v60
	v_add_f32_e32 v8, v0, v8
	v_fma_f32 v9, v57, s14, -v36
	v_fmac_f32_e32 v37, 0xbf7d64f0, v60
	v_add_f32_e32 v5, v1, v17
	v_fmac_f32_e32 v20, 0xbf4178ce, v61
	v_add_f32_e32 v8, v9, v8
	v_add_f32_e32 v9, v1, v37
	v_fmac_f32_e32 v40, 0x3e903f40, v61
	v_add_f32_e32 v5, v20, v5
	v_fmac_f32_e32 v24, 0x3e903f40, v66
	v_add_f32_e32 v9, v40, v9
	v_fma_f32 v13, v64, s16, -v41
	v_fmac_f32_e32 v75, 0x3f68dda4, v66
	v_add_f32_e32 v5, v24, v5
	v_fmac_f32_e32 v28, 0x3f7d64f0, v73
	v_add_f32_e32 v8, v13, v8
	v_add_f32_e32 v9, v75, v9
	v_fma_f32 v13, v71, s15, -v76
	v_fmac_f32_e32 v81, 0xbf0a6770, v73
	v_add_f32_e32 v5, v28, v5
	v_fmac_f32_e32 v32, 0x3f0a6770, v86
	v_add_f32_e32 v8, v13, v8
	v_add_f32_e32 v9, v81, v9
	v_fma_f32 v13, v82, s8, -v88
	v_fmac_f32_e32 v89, 0xbf4178ce, v86
	v_add_f32_e32 v5, v32, v5
	v_add_f32_e32 v8, v13, v8
	;; [unrolled: 1-line block ×3, first 2 shown]
	ds_write2_b64 v12, v[8:9], v[4:5] offset0:8 offset1:9
	v_fma_f32 v4, v55, s15, -v56
	v_fmac_f32_e32 v59, 0xbf0a6770, v60
	v_fma_f32 v5, v57, s16, -v58
	v_add_f32_e32 v0, v0, v4
	v_fmac_f32_e32 v62, 0xbf68dda4, v61
	v_add_f32_e32 v1, v1, v59
	v_add_f32_e32 v0, v5, v0
	;; [unrolled: 1-line block ×3, first 2 shown]
	v_fma_f32 v4, v64, s9, -v65
	v_fmac_f32_e32 v67, 0xbf7d64f0, v66
	v_add_f32_e32 v0, v4, v0
	v_add_f32_e32 v1, v67, v1
	v_fma_f32 v4, v71, s8, -v72
	v_fmac_f32_e32 v74, 0xbf4178ce, v73
	v_add_f32_e32 v0, v4, v0
	v_add_f32_e32 v1, v74, v1
	v_fma_f32 v4, v82, s14, -v84
	v_fmac_f32_e32 v87, 0xbe903f40, v86
	v_sub_f32_e32 v60, v15, v7
	v_add_f32_e32 v0, v4, v0
	v_add_f32_e32 v1, v87, v1
	v_mul_f32_e32 v17, 0xbf7d64f0, v60
	ds_write_b64 v12, v[0:1] offset:80
	v_add_f32_e32 v0, v6, v14
	v_mov_b32_e32 v1, v17
	v_sub_f32_e32 v62, v19, v11
	v_fmac_f32_e32 v1, 0xbe11bafb, v0
	v_mul_f32_e32 v21, 0x3e903f40, v62
	v_add_f32_e32 v4, v2, v1
	v_add_f32_e32 v1, v10, v18
	v_mov_b32_e32 v5, v21
	v_fmac_f32_e32 v5, 0xbf75a155, v1
	v_add_f32_e32 v8, v5, v4
	v_sub_f32_e32 v5, v14, v6
	v_add_f32_e32 v73, v7, v15
	v_mul_f32_e32 v25, 0xbf7d64f0, v5
	v_sub_f32_e32 v9, v18, v10
	v_fma_f32 v4, v73, s9, -v25
	v_add_f32_e32 v72, v11, v19
	v_mul_f32_e32 v36, 0x3e903f40, v9
	v_sub_f32_e32 v67, v27, v23
	v_add_f32_e32 v4, v3, v4
	v_fma_f32 v12, v72, s14, -v36
	v_mul_f32_e32 v24, 0x3f68dda4, v67
	v_add_f32_e32 v12, v12, v4
	v_add_f32_e32 v4, v22, v26
	v_mov_b32_e32 v13, v24
	v_fmac_f32_e32 v13, 0x3ed4b147, v4
	v_add_f32_e32 v16, v13, v8
	v_sub_f32_e32 v13, v26, v22
	v_add_f32_e32 v74, v23, v27
	v_mul_f32_e32 v40, 0x3f68dda4, v13
	v_sub_f32_e32 v70, v35, v31
	v_fma_f32 v8, v74, s16, -v40
	v_mul_f32_e32 v37, 0xbf0a6770, v70
	v_add_f32_e32 v12, v8, v12
	v_add_f32_e32 v8, v30, v34
	v_mov_b32_e32 v20, v37
	v_fmac_f32_e32 v20, 0x3f575c64, v8
	v_add_f32_e32 v20, v20, v16
	v_sub_f32_e32 v16, v34, v30
	v_add_f32_e32 v75, v31, v35
	v_mul_f32_e32 v55, 0xbf0a6770, v16
	v_sub_f32_e32 v71, v43, v39
	v_fma_f32 v28, v75, s15, -v55
	v_mul_f32_e32 v41, 0xbf4178ce, v71
	v_add_f32_e32 v29, v28, v12
	v_add_f32_e32 v12, v38, v42
	v_mov_b32_e32 v28, v41
	v_fmac_f32_e32 v28, 0xbf27a4f4, v12
	v_add_f32_e32 v28, v28, v20
	v_sub_f32_e32 v20, v42, v38
	v_add_f32_e32 v76, v39, v43
	v_mul_f32_e32 v56, 0xbf4178ce, v20
	v_fma_f32 v32, v76, s8, -v56
	v_mul_f32_e32 v57, 0xbf4178ce, v60
	v_add_f32_e32 v29, v32, v29
	v_mov_b32_e32 v32, v57
	v_mul_f32_e32 v58, 0x3f7d64f0, v62
	v_fmac_f32_e32 v32, 0xbf27a4f4, v0
	v_mov_b32_e32 v33, v58
	v_add_f32_e32 v32, v2, v32
	v_fmac_f32_e32 v33, 0xbe11bafb, v1
	v_mul_f32_e32 v63, 0xbf4178ce, v5
	v_add_f32_e32 v32, v33, v32
	v_fma_f32 v33, v73, s8, -v63
	v_mul_f32_e32 v64, 0x3f7d64f0, v9
	v_add_f32_e32 v33, v3, v33
	v_fma_f32 v59, v72, s9, -v64
	v_add_f32_e32 v33, v59, v33
	v_mul_f32_e32 v59, 0xbf0a6770, v67
	v_mov_b32_e32 v61, v59
	v_fmac_f32_e32 v61, 0x3f575c64, v4
	v_mul_f32_e32 v66, 0xbf0a6770, v13
	v_add_f32_e32 v32, v61, v32
	v_fma_f32 v61, v74, s15, -v66
	v_add_f32_e32 v33, v61, v33
	v_mul_f32_e32 v61, 0xbe903f40, v70
	v_mov_b32_e32 v65, v61
	v_fmac_f32_e32 v65, 0xbf75a155, v8
	;; [unrolled: 7-line block ×3, first 2 shown]
	v_add_f32_e32 v32, v69, v32
	v_mul_f32_e32 v69, 0x3f68dda4, v20
	v_fma_f32 v77, v76, s16, -v69
	v_add_f32_e32 v33, v77, v33
	v_cmp_gt_u32_e32 vcc, 40, v46
	s_and_saveexec_b64 s[6:7], vcc
	s_cbranch_execz .LBB0_23
; %bb.22:
	v_mul_f32_e32 v97, 0xbf75a155, v73
	v_mov_b32_e32 v77, v97
	v_mul_f32_e32 v98, 0x3f575c64, v72
	v_fmac_f32_e32 v77, 0x3e903f40, v5
	v_mov_b32_e32 v78, v98
	v_add_f32_e32 v77, v3, v77
	v_fmac_f32_e32 v78, 0xbf0a6770, v9
	v_mul_f32_e32 v99, 0xbf27a4f4, v74
	v_add_f32_e32 v77, v78, v77
	v_mov_b32_e32 v78, v99
	v_fmac_f32_e32 v78, 0x3f4178ce, v13
	v_mul_f32_e32 v100, 0x3ed4b147, v75
	v_add_f32_e32 v77, v78, v77
	v_mov_b32_e32 v78, v100
	;; [unrolled: 4-line block ×4, first 2 shown]
	v_mul_f32_e32 v103, 0x3f0a6770, v62
	v_fmac_f32_e32 v77, 0xbf75a155, v0
	v_mov_b32_e32 v104, v103
	v_add_f32_e32 v77, v2, v77
	v_fmac_f32_e32 v104, 0x3f575c64, v1
	v_add_f32_e32 v77, v104, v77
	v_mul_f32_e32 v104, 0xbf4178ce, v67
	v_mov_b32_e32 v105, v104
	v_fmac_f32_e32 v105, 0xbf27a4f4, v4
	v_add_f32_e32 v77, v105, v77
	v_mul_f32_e32 v105, 0x3f68dda4, v70
	v_mov_b32_e32 v106, v105
	;; [unrolled: 4-line block ×4, first 2 shown]
	v_mul_f32_e32 v109, 0xbf27a4f4, v72
	v_fmac_f32_e32 v108, 0x3f68dda4, v5
	v_mov_b32_e32 v110, v109
	v_add_f32_e32 v15, v3, v15
	v_add_f32_e32 v108, v3, v108
	v_fmac_f32_e32 v110, 0x3f4178ce, v9
	v_add_f32_e32 v19, v15, v19
	v_add_f32_e32 v108, v110, v108
	v_mul_f32_e32 v110, 0xbf75a155, v74
	v_add_f32_e32 v19, v19, v27
	v_mov_b32_e32 v111, v110
	v_add_f32_e32 v35, v19, v35
	v_fmac_f32_e32 v111, 0xbe903f40, v13
	v_add_f32_e32 v35, v35, v43
	v_add_f32_e32 v14, v2, v14
	;; [unrolled: 1-line block ×3, first 2 shown]
	v_mul_f32_e32 v111, 0xbe11bafb, v75
	v_mul_f32_e32 v113, 0xbf68dda4, v60
	v_add_f32_e32 v35, v35, v39
	v_mov_b32_e32 v112, v111
	v_add_f32_e32 v14, v14, v18
	v_mov_b32_e32 v15, v113
	v_mul_f32_e32 v114, 0xbf4178ce, v62
	v_add_f32_e32 v31, v35, v31
	v_fmac_f32_e32 v112, 0xbf7d64f0, v16
	v_fmac_f32_e32 v15, 0x3ed4b147, v0
	v_mov_b32_e32 v18, v114
	v_add_f32_e32 v26, v14, v26
	v_add_f32_e32 v23, v31, v23
	;; [unrolled: 1-line block ×3, first 2 shown]
	v_mul_f32_e32 v112, 0x3f575c64, v76
	v_add_f32_e32 v15, v2, v15
	v_fmac_f32_e32 v18, 0xbf27a4f4, v1
	v_add_f32_e32 v26, v26, v34
	v_add_f32_e32 v11, v23, v11
	;; [unrolled: 1-line block ×3, first 2 shown]
	v_mov_b32_e32 v15, v112
	v_add_f32_e32 v7, v11, v7
	v_add_f32_e32 v11, v26, v42
	v_fmac_f32_e32 v15, 0xbf0a6770, v20
	v_add_f32_e32 v11, v11, v38
	v_add_f32_e32 v15, v15, v108
	v_mul_f32_e32 v108, 0x3e903f40, v67
	v_add_f32_e32 v11, v11, v30
	v_mov_b32_e32 v14, v108
	v_add_f32_e32 v11, v11, v22
	v_fmac_f32_e32 v14, 0xbf75a155, v4
	v_mul_f32_e32 v115, 0x3f7d64f0, v70
	v_add_f32_e32 v10, v11, v10
	v_fmac_f32_e32 v97, 0xbe903f40, v5
	v_add_f32_e32 v14, v14, v18
	v_mov_b32_e32 v18, v115
	v_add_f32_e32 v6, v10, v6
	v_add_f32_e32 v10, v3, v97
	v_fmac_f32_e32 v98, 0x3f0a6770, v9
	v_fmac_f32_e32 v18, 0xbe11bafb, v8
	v_mul_f32_e32 v116, 0x3f0a6770, v71
	v_add_f32_e32 v10, v98, v10
	v_fmac_f32_e32 v99, 0xbf4178ce, v13
	v_add_f32_e32 v14, v18, v14
	v_mov_b32_e32 v18, v116
	v_add_f32_e32 v10, v99, v10
	v_fmac_f32_e32 v100, 0x3f68dda4, v16
	v_mul_f32_e32 v80, 0xbe11bafb, v73
	v_mul_f32_e32 v82, 0xbf27a4f4, v73
	v_fmac_f32_e32 v18, 0x3f575c64, v12
	v_mul_f32_e32 v73, 0x3f575c64, v73
	v_add_f32_e32 v10, v100, v10
	v_fmac_f32_e32 v101, 0xbf7d64f0, v20
	v_add_f32_e32 v14, v18, v14
	v_mov_b32_e32 v18, v73
	v_mul_f32_e32 v34, 0x3ed4b147, v72
	v_add_f32_e32 v11, v101, v10
	v_fma_f32 v10, v0, s14, -v102
	v_fmac_f32_e32 v18, 0x3f0a6770, v5
	v_mov_b32_e32 v19, v34
	v_add_f32_e32 v10, v2, v10
	v_fma_f32 v22, v1, s15, -v103
	v_mul_f32_e32 v84, 0xbf75a155, v72
	v_mul_f32_e32 v86, 0xbe11bafb, v72
	v_add_f32_e32 v18, v3, v18
	v_fmac_f32_e32 v19, 0x3f68dda4, v9
	v_mul_f32_e32 v72, 0xbe11bafb, v74
	v_add_f32_e32 v10, v22, v10
	v_fma_f32 v22, v4, s8, -v104
	v_add_f32_e32 v18, v19, v18
	v_mov_b32_e32 v19, v72
	v_add_f32_e32 v10, v22, v10
	v_fma_f32 v22, v8, s16, -v105
	v_mul_f32_e32 v79, 0xbe11bafb, v0
	v_mul_f32_e32 v88, 0x3ed4b147, v74
	;; [unrolled: 1-line block ×3, first 2 shown]
	v_fmac_f32_e32 v19, 0x3f7d64f0, v13
	v_mul_f32_e32 v74, 0xbf27a4f4, v75
	v_add_f32_e32 v10, v22, v10
	v_fma_f32 v22, v12, s9, -v106
	v_mul_f32_e32 v83, 0xbf75a155, v1
	v_add_f32_e32 v18, v19, v18
	v_mov_b32_e32 v19, v74
	v_add_f32_e32 v10, v22, v10
	v_add_f32_e32 v22, v63, v82
	v_sub_f32_e32 v17, v79, v17
	v_mul_f32_e32 v87, 0x3ed4b147, v4
	v_mul_f32_e32 v92, 0x3f575c64, v75
	;; [unrolled: 1-line block ×3, first 2 shown]
	v_fmac_f32_e32 v19, 0x3f4178ce, v16
	v_mul_f32_e32 v75, 0xbf75a155, v76
	v_add_f32_e32 v22, v3, v22
	v_add_f32_e32 v23, v64, v86
	;; [unrolled: 1-line block ×3, first 2 shown]
	v_sub_f32_e32 v21, v83, v21
	v_mul_f32_e32 v91, 0x3f575c64, v8
	v_add_f32_e32 v18, v19, v18
	v_mov_b32_e32 v19, v75
	v_add_f32_e32 v22, v23, v22
	v_add_f32_e32 v23, v66, v90
	;; [unrolled: 1-line block ×3, first 2 shown]
	v_sub_f32_e32 v21, v87, v24
	v_mul_f32_e32 v95, 0xbf27a4f4, v12
	v_mul_f32_e32 v117, 0x3ed4b147, v76
	v_fmac_f32_e32 v19, 0x3e903f40, v20
	v_mul_f32_e32 v60, 0xbf0a6770, v60
	v_add_f32_e32 v22, v23, v22
	v_add_f32_e32 v23, v68, v94
	;; [unrolled: 1-line block ×3, first 2 shown]
	v_sub_f32_e32 v21, v91, v37
	v_mul_f32_e32 v81, 0xbf27a4f4, v0
	v_add_f32_e32 v19, v19, v18
	v_mov_b32_e32 v18, v60
	v_mul_f32_e32 v62, 0xbf68dda4, v62
	v_add_f32_e32 v22, v23, v22
	v_add_f32_e32 v23, v69, v117
	;; [unrolled: 1-line block ×3, first 2 shown]
	v_sub_f32_e32 v21, v95, v41
	v_fmac_f32_e32 v107, 0xbf68dda4, v5
	v_mul_f32_e32 v85, 0xbe11bafb, v1
	v_mul_f32_e32 v96, 0xbf27a4f4, v76
	v_fmac_f32_e32 v18, 0x3f575c64, v0
	v_mov_b32_e32 v76, v62
	v_add_f32_e32 v23, v23, v22
	v_sub_f32_e32 v22, v81, v57
	v_add_f32_e32 v24, v21, v17
	v_add_f32_e32 v17, v3, v107
	v_fmac_f32_e32 v109, 0xbf4178ce, v9
	v_mul_f32_e32 v89, 0x3f575c64, v4
	v_add_f32_e32 v18, v2, v18
	v_fmac_f32_e32 v76, 0x3ed4b147, v1
	v_mul_f32_e32 v67, 0xbf7d64f0, v67
	v_add_f32_e32 v22, v2, v22
	v_sub_f32_e32 v26, v85, v58
	v_add_f32_e32 v17, v109, v17
	v_fmac_f32_e32 v110, 0x3e903f40, v13
	v_mul_f32_e32 v93, 0xbf75a155, v8
	v_add_f32_e32 v18, v76, v18
	v_mov_b32_e32 v76, v67
	v_add_f32_e32 v22, v26, v22
	v_sub_f32_e32 v26, v89, v59
	v_add_f32_e32 v17, v110, v17
	v_fmac_f32_e32 v111, 0x3f7d64f0, v16
	v_mul_f32_e32 v27, 0x3ed4b147, v12
	v_fmac_f32_e32 v76, 0xbe11bafb, v4
	v_mul_f32_e32 v70, 0xbf4178ce, v70
	v_add_f32_e32 v22, v26, v22
	v_sub_f32_e32 v26, v93, v61
	v_add_f32_e32 v17, v111, v17
	v_fmac_f32_e32 v112, 0x3f0a6770, v20
	v_add_f32_e32 v18, v76, v18
	v_mov_b32_e32 v76, v70
	v_add_f32_e32 v22, v26, v22
	v_sub_f32_e32 v26, v27, v65
	v_add_f32_e32 v27, v112, v17
	v_fma_f32 v17, v0, s16, -v113
	v_fma_f32 v0, v0, s15, -v60
	v_fmac_f32_e32 v76, 0xbf27a4f4, v8
	v_mul_f32_e32 v71, 0xbe903f40, v71
	v_fma_f32 v21, v1, s8, -v114
	v_add_f32_e32 v0, v2, v0
	v_fma_f32 v1, v1, s16, -v62
	v_add_f32_e32 v18, v76, v18
	v_mov_b32_e32 v76, v71
	v_add_f32_e32 v0, v1, v0
	v_fma_f32 v1, v4, s9, -v67
	v_fmac_f32_e32 v76, 0xbf75a155, v12
	v_add_f32_e32 v0, v1, v0
	v_fma_f32 v1, v8, s8, -v70
	v_add_f32_e32 v18, v76, v18
	v_mul_u32_u24_e32 v76, 0x58, v46
	v_add_f32_e32 v0, v1, v0
	v_fma_f32 v1, v12, s14, -v71
	v_add_f32_e32 v25, v25, v80
	v_add_f32_e32 v17, v2, v17
	v_add_f32_e32 v2, v1, v0
	v_add_u32_e32 v0, 0, v76
	v_add_f32_e32 v22, v26, v22
	v_add_f32_e32 v25, v3, v25
	;; [unrolled: 1-line block ×3, first 2 shown]
	v_fmac_f32_e32 v73, 0xbf0a6770, v5
	v_add_u32_e32 v1, 0x25d0, v0
	v_add_f32_e32 v25, v26, v25
	v_add_f32_e32 v26, v40, v88
	v_add_f32_e32 v17, v21, v17
	v_fma_f32 v21, v4, s14, -v108
	v_add_f32_e32 v3, v3, v73
	v_fmac_f32_e32 v34, 0xbf68dda4, v9
	ds_write2_b64 v1, v[6:7], v[18:19] offset1:1
	v_add_u32_e32 v1, 0x25e0, v0
	v_add_f32_e32 v25, v26, v25
	v_add_f32_e32 v26, v55, v92
	v_add_f32_e32 v17, v21, v17
	v_fma_f32 v21, v8, s9, -v115
	v_add_f32_e32 v3, v34, v3
	v_fmac_f32_e32 v72, 0xbf7d64f0, v13
	ds_write2_b64 v1, v[14:15], v[28:29] offset1:1
	v_add_u32_e32 v1, 0x25f0, v0
	v_add_f32_e32 v25, v26, v25
	v_add_f32_e32 v26, v56, v96
	v_add_f32_e32 v17, v21, v17
	v_fma_f32 v21, v12, s15, -v116
	v_add_f32_e32 v3, v72, v3
	v_fmac_f32_e32 v74, 0xbf4178ce, v16
	ds_write2_b64 v1, v[32:33], v[77:78] offset1:1
	v_add_u32_e32 v1, 0x2600, v0
	v_add_f32_e32 v25, v26, v25
	v_add_f32_e32 v26, v21, v17
	;; [unrolled: 1-line block ×3, first 2 shown]
	v_fmac_f32_e32 v75, 0xbe903f40, v20
	ds_write2_b64 v1, v[10:11], v[22:23] offset1:1
	v_add_u32_e32 v1, 0x2610, v0
	v_add_f32_e32 v3, v75, v3
	ds_write2_b64 v1, v[24:25], v[26:27] offset1:1
	ds_write_b64 v0, v[2:3] offset:9760
.LBB0_23:
	s_or_b64 exec, exec, s[6:7]
	v_add_u32_e32 v8, 0x1c00, v50
	s_waitcnt lgkmcnt(0)
	s_barrier
	ds_read2_b64 v[4:7], v50 offset1:110
	ds_read2_b64 v[0:3], v54 offset0:20 offset1:185
	ds_read2_b64 v[16:19], v8 offset0:39 offset1:149
	;; [unrolled: 1-line block ×6, first 2 shown]
	s_and_saveexec_b64 s[6:7], s[2:3]
	s_cbranch_execz .LBB0_25
; %bb.24:
	ds_read_b64 v[28:29], v50 offset:6160
	ds_read_b64 v[32:33], v50 offset:12760
.LBB0_25:
	s_or_b64 exec, exec, s[6:7]
	s_movk_i32 s6, 0x75
	v_mul_lo_u16_sdwa v34, v46, s6 dst_sel:DWORD dst_unused:UNUSED_PAD src0_sel:BYTE_0 src1_sel:DWORD
	v_sub_u16_sdwa v37, v46, v34 dst_sel:DWORD dst_unused:UNUSED_PAD src0_sel:DWORD src1_sel:BYTE_1
	v_lshrrev_b16_e32 v37, 1, v37
	v_and_b32_e32 v37, 0x7f, v37
	v_add_u16_sdwa v34, v37, v34 dst_sel:DWORD dst_unused:UNUSED_PAD src0_sel:DWORD src1_sel:BYTE_1
	v_lshrrev_b16_e32 v47, 3, v34
	v_mul_lo_u16_e32 v34, 11, v47
	v_add_u32_e32 v31, 0x6e, v46
	v_sub_u16_e32 v37, v46, v34
	v_mov_b32_e32 v34, 3
	v_lshlrev_b32_sdwa v61, v34, v37 dst_sel:DWORD dst_unused:UNUSED_PAD src0_sel:DWORD src1_sel:BYTE_0
	v_mul_lo_u16_sdwa v37, v31, s6 dst_sel:DWORD dst_unused:UNUSED_PAD src0_sel:BYTE_0 src1_sel:DWORD
	v_sub_u16_sdwa v40, v31, v37 dst_sel:DWORD dst_unused:UNUSED_PAD src0_sel:DWORD src1_sel:BYTE_1
	v_lshrrev_b16_e32 v40, 1, v40
	v_and_b32_e32 v40, 0x7f, v40
	v_add_u16_sdwa v37, v40, v37 dst_sel:DWORD dst_unused:UNUSED_PAD src0_sel:DWORD src1_sel:BYTE_1
	v_lshrrev_b16_e32 v62, 3, v37
	v_mul_lo_u16_e32 v37, 11, v62
	v_add_u32_e32 v35, 0x1b8, v46
	v_sub_u16_e32 v37, v31, v37
	s_mov_b32 s8, 0xba2f
	v_lshlrev_b32_sdwa v63, v34, v37 dst_sel:DWORD dst_unused:UNUSED_PAD src0_sel:DWORD src1_sel:BYTE_0
	v_mul_u32_u24_sdwa v37, v35, s8 dst_sel:DWORD dst_unused:UNUSED_PAD src0_sel:WORD_0 src1_sel:DWORD
	v_lshrrev_b32_e32 v64, 19, v37
	v_mul_lo_u16_e32 v40, 11, v64
	v_add_u32_e32 v38, 0x226, v46
	v_sub_u16_e32 v40, v35, v40
	v_lshlrev_b32_e32 v65, 3, v40
	v_mul_u32_u24_sdwa v40, v38, s8 dst_sel:DWORD dst_unused:UNUSED_PAD src0_sel:WORD_0 src1_sel:DWORD
	v_lshrrev_b32_e32 v66, 19, v40
	v_mul_lo_u16_e32 v40, 11, v66
	v_add_u32_e32 v39, 0x294, v46
	v_sub_u16_e32 v38, v38, v40
	v_lshlrev_b32_e32 v67, 3, v38
	v_mul_u32_u24_sdwa v38, v39, s8 dst_sel:DWORD dst_unused:UNUSED_PAD src0_sel:WORD_0 src1_sel:DWORD
	v_lshrrev_b32_e32 v68, 19, v38
	v_add_u32_e32 v30, 0xdc, v46
	v_mul_lo_u16_e32 v38, 11, v68
	v_sub_u16_e32 v38, v39, v38
	v_mul_u32_u24_sdwa v39, v30, s8 dst_sel:DWORD dst_unused:UNUSED_PAD src0_sel:WORD_0 src1_sel:DWORD
	v_lshrrev_b32_e32 v70, 19, v39
	global_load_dwordx2 v[40:41], v65, s[12:13]
	global_load_dwordx2 v[42:43], v67, s[12:13]
	v_lshlrev_b32_e32 v69, 3, v38
	v_mul_lo_u16_e32 v38, 11, v70
	v_add_u32_e32 v36, 0x14a, v46
	v_sub_u16_e32 v38, v30, v38
	global_load_dwordx2 v[53:54], v61, s[12:13]
	global_load_dwordx2 v[55:56], v63, s[12:13]
	;; [unrolled: 1-line block ×3, first 2 shown]
	v_lshlrev_b32_e32 v71, 3, v38
	v_mul_u32_u24_sdwa v38, v36, s8 dst_sel:DWORD dst_unused:UNUSED_PAD src0_sel:WORD_0 src1_sel:DWORD
	v_lshrrev_b32_e32 v72, 19, v38
	v_mul_lo_u16_e32 v57, 11, v72
	v_sub_u16_e32 v59, v36, v57
	global_load_dwordx2 v[57:58], v71, s[12:13]
	v_lshlrev_b32_e32 v73, 3, v59
	global_load_dwordx2 v[59:60], v73, s[12:13]
	s_waitcnt vmcnt(0) lgkmcnt(0)
	s_barrier
	v_mul_f32_e32 v74, v41, v23
	v_mul_f32_e32 v75, v43, v25
	;; [unrolled: 1-line block ×4, first 2 shown]
	v_fmac_f32_e32 v74, v40, v22
	v_fmac_f32_e32 v75, v42, v24
	v_mul_f32_e32 v22, v54, v3
	v_mul_f32_e32 v24, v54, v2
	;; [unrolled: 1-line block ×3, first 2 shown]
	v_fma_f32 v23, v40, v23, -v41
	v_mul_f32_e32 v40, v56, v16
	v_fmac_f32_e32 v22, v53, v2
	v_fma_f32 v3, v53, v3, -v24
	v_mul_f32_e32 v52, v52, v26
	v_fmac_f32_e32 v76, v51, v26
	v_mul_f32_e32 v26, v56, v17
	v_fma_f32 v17, v55, v17, -v40
	v_sub_f32_e32 v2, v4, v22
	v_sub_f32_e32 v3, v5, v3
	v_mul_u32_u24_e32 v40, 0xb0, v47
	v_fmac_f32_e32 v26, v55, v16
	v_fma_f32 v4, v4, 2.0, -v2
	v_fma_f32 v5, v5, 2.0, -v3
	v_add3_u32 v40, 0, v40, v61
	v_fma_f32 v25, v42, v25, -v43
	v_mul_f32_e32 v41, v58, v19
	v_mul_f32_e32 v42, v58, v18
	v_sub_f32_e32 v16, v6, v26
	v_sub_f32_e32 v17, v7, v17
	ds_write2_b64 v40, v[4:5], v[2:3] offset1:11
	v_mul_u32_u24_e32 v2, 0xb0, v62
	v_fmac_f32_e32 v41, v57, v18
	v_fma_f32 v19, v57, v19, -v42
	v_fma_f32 v6, v6, 2.0, -v16
	v_fma_f32 v7, v7, 2.0, -v17
	v_add3_u32 v2, 0, v2, v63
	v_fma_f32 v27, v51, v27, -v52
	v_mul_f32_e32 v43, v60, v21
	v_mul_f32_e32 v51, v60, v20
	v_sub_f32_e32 v18, v12, v41
	v_sub_f32_e32 v19, v13, v19
	ds_write2_b64 v2, v[6:7], v[16:17] offset1:11
	v_mul_u32_u24_e32 v2, 0xb0, v70
	v_fmac_f32_e32 v43, v59, v20
	v_fma_f32 v21, v59, v21, -v51
	v_fma_f32 v12, v12, 2.0, -v18
	v_fma_f32 v13, v13, 2.0, -v19
	v_add3_u32 v2, 0, v2, v71
	v_sub_f32_e32 v20, v14, v43
	v_sub_f32_e32 v21, v15, v21
	ds_write2_b64 v2, v[12:13], v[18:19] offset1:11
	v_mul_u32_u24_e32 v2, 0xb0, v72
	v_fma_f32 v14, v14, 2.0, -v20
	v_fma_f32 v15, v15, 2.0, -v21
	v_add3_u32 v2, 0, v2, v73
	v_sub_f32_e32 v22, v8, v74
	v_sub_f32_e32 v23, v9, v23
	ds_write2_b64 v2, v[14:15], v[20:21] offset1:11
	v_mul_u32_u24_e32 v2, 0xb0, v64
	;; [unrolled: 7-line block ×4, first 2 shown]
	v_fma_f32 v0, v0, 2.0, -v26
	v_fma_f32 v1, v1, 2.0, -v27
	v_add3_u32 v2, 0, v2, v69
	ds_write2_b64 v2, v[0:1], v[26:27] offset1:11
	s_and_saveexec_b64 s[6:7], s[2:3]
	s_cbranch_execz .LBB0_27
; %bb.26:
	v_add_u32_e32 v0, 0x302, v46
	v_mul_u32_u24_sdwa v1, v0, s8 dst_sel:DWORD dst_unused:UNUSED_PAD src0_sel:WORD_0 src1_sel:DWORD
	v_lshrrev_b32_e32 v2, 19, v1
	v_mul_lo_u16_e32 v1, 11, v2
	v_sub_u16_e32 v0, v0, v1
	v_lshlrev_b32_e32 v4, 3, v0
	global_load_dwordx2 v[0:1], v4, s[12:13]
	v_mul_lo_u16_e32 v2, 22, v2
	v_lshlrev_b32_e32 v5, 3, v2
	v_add3_u32 v4, 0, v4, v5
	s_waitcnt vmcnt(0)
	v_mul_f32_e32 v2, v32, v1
	v_mul_f32_e32 v3, v33, v1
	v_fma_f32 v1, v33, v0, -v2
	v_fmac_f32_e32 v3, v32, v0
	v_sub_f32_e32 v1, v29, v1
	v_sub_f32_e32 v0, v28, v3
	v_fma_f32 v3, v29, 2.0, -v1
	v_fma_f32 v2, v28, 2.0, -v0
	ds_write2_b64 v4, v[2:3], v[0:1] offset1:11
.LBB0_27:
	s_or_b64 exec, exec, s[6:7]
	v_lshrrev_b32_e32 v32, 20, v39
	v_mul_lo_u16_e32 v0, 22, v32
	v_lshrrev_b32_e32 v43, 20, v38
	v_sub_u16_e32 v33, v30, v0
	v_mul_lo_u16_e32 v1, 22, v43
	v_lshlrev_b32_e32 v0, 4, v33
	v_sub_u16_e32 v47, v36, v1
	s_waitcnt lgkmcnt(0)
	s_barrier
	global_load_dwordx4 v[8:11], v0, s[12:13] offset:88
	v_lshlrev_b32_e32 v0, 4, v47
	v_lshrrev_b32_e32 v71, 20, v37
	global_load_dwordx4 v[12:15], v0, s[12:13] offset:88
	v_mul_lo_u16_e32 v0, 22, v71
	v_sub_u16_e32 v72, v35, v0
	v_lshlrev_b32_e32 v0, 4, v72
	global_load_dwordx4 v[16:19], v0, s[12:13] offset:88
	v_lshrrev_b16_e32 v0, 1, v46
	v_and_b32_e32 v0, 0x7f, v0
	v_mul_lo_u16_e32 v0, 0xbb, v0
	v_lshrrev_b16_e32 v73, 11, v0
	v_mov_b32_e32 v2, 1
	v_mul_lo_u16_e32 v0, 22, v73
	v_lshrrev_b16_sdwa v2, v2, v31 dst_sel:DWORD dst_unused:UNUSED_PAD src0_sel:DWORD src1_sel:BYTE_0
	v_sub_u16_e32 v74, v46, v0
	v_mov_b32_e32 v0, 4
	v_mul_lo_u16_e32 v2, 0xbb, v2
	v_lshlrev_b32_sdwa v1, v0, v74 dst_sel:DWORD dst_unused:UNUSED_PAD src0_sel:DWORD src1_sel:BYTE_0
	v_lshrrev_b16_e32 v75, 11, v2
	global_load_dwordx4 v[20:23], v1, s[12:13] offset:88
	v_mul_lo_u16_e32 v1, 22, v75
	v_sub_u16_e32 v76, v31, v1
	v_lshlrev_b32_sdwa v0, v0, v76 dst_sel:DWORD dst_unused:UNUSED_PAD src0_sel:DWORD src1_sel:BYTE_0
	global_load_dwordx4 v[24:27], v0, s[12:13] offset:88
	ds_read2_b64 v[35:38], v50 offset1:110
	v_add_u32_e32 v3, 0xc00, v50
	v_add_u32_e32 v2, 0x2000, v50
	;; [unrolled: 1-line block ×6, first 2 shown]
	ds_read_b64 v[0:1], v50 offset:12320
	ds_read2_b64 v[39:42], v3 offset0:56 offset1:166
	ds_read2_b64 v[51:54], v7 offset0:20 offset1:130
	;; [unrolled: 1-line block ×6, first 2 shown]
	s_waitcnt vmcnt(0) lgkmcnt(0)
	s_barrier
	s_movk_i32 s2, 0x42
	v_cmp_gt_u32_e32 vcc, s2, v46
	s_movk_i32 s2, 0xf9
	v_mul_f32_e32 v28, v54, v9
	v_mul_f32_e32 v9, v53, v9
	;; [unrolled: 1-line block ×10, first 2 shown]
	v_fmac_f32_e32 v28, v53, v8
	v_fma_f32 v53, v54, v8, -v9
	v_fmac_f32_e32 v29, v59, v10
	v_fma_f32 v54, v60, v10, -v11
	;; [unrolled: 2-line block ×3, first 2 shown]
	v_fma_f32 v60, v62, v14, -v15
	v_fmac_f32_e32 v80, v0, v18
	v_fma_f32 v62, v1, v18, -v19
	v_mul_f32_e32 v79, v70, v17
	v_mul_f32_e32 v11, v21, v42
	;; [unrolled: 1-line block ×5, first 2 shown]
	v_fmac_f32_e32 v11, v20, v41
	v_fmac_f32_e32 v12, v22, v55
	v_mul_f32_e32 v17, v69, v17
	v_fmac_f32_e32 v78, v61, v14
	v_mul_f32_e32 v8, v25, v51
	v_mul_f32_e32 v9, v27, v57
	v_fma_f32 v13, v20, v42, -v0
	v_fma_f32 v14, v22, v56, -v1
	v_add_f32_e32 v1, v11, v12
	v_fmac_f32_e32 v79, v69, v16
	v_fma_f32 v61, v70, v16, -v17
	v_mul_f32_e32 v15, v25, v52
	v_mul_f32_e32 v16, v27, v58
	v_fma_f32 v17, v24, v52, -v8
	v_fma_f32 v18, v26, v58, -v9
	v_fma_f32 v8, -0.5, v1, v35
	v_add_f32_e32 v9, v13, v14
	v_fmac_f32_e32 v15, v24, v51
	v_fmac_f32_e32 v16, v26, v57
	v_add_f32_e32 v0, v35, v11
	v_sub_f32_e32 v1, v13, v14
	v_mov_b32_e32 v10, v8
	v_fma_f32 v9, -0.5, v9, v36
	v_add_f32_e32 v19, v53, v54
	v_add_f32_e32 v0, v0, v12
	v_fmac_f32_e32 v10, 0xbf5db3d7, v1
	v_fmac_f32_e32 v8, 0x3f5db3d7, v1
	v_add_f32_e32 v1, v36, v13
	v_sub_f32_e32 v12, v11, v12
	v_mov_b32_e32 v11, v9
	v_add_f32_e32 v13, v15, v16
	v_fma_f32 v19, -0.5, v19, v64
	v_fmac_f32_e32 v11, 0x3f5db3d7, v12
	v_fmac_f32_e32 v9, 0xbf5db3d7, v12
	v_add_f32_e32 v12, v37, v15
	v_fma_f32 v37, -0.5, v13, v37
	v_sub_f32_e32 v22, v28, v29
	v_mov_b32_e32 v21, v19
	v_add_f32_e32 v23, v77, v78
	v_add_f32_e32 v1, v1, v14
	v_sub_f32_e32 v13, v17, v18
	v_mov_b32_e32 v14, v37
	v_fmac_f32_e32 v21, 0x3f5db3d7, v22
	v_fmac_f32_e32 v19, 0xbf5db3d7, v22
	v_add_f32_e32 v22, v65, v77
	v_fma_f32 v65, -0.5, v23, v65
	v_fmac_f32_e32 v14, 0xbf5db3d7, v13
	v_fmac_f32_e32 v37, 0x3f5db3d7, v13
	v_add_f32_e32 v13, v38, v17
	v_add_f32_e32 v17, v17, v18
	v_sub_f32_e32 v23, v59, v60
	v_mov_b32_e32 v24, v65
	v_add_f32_e32 v25, v59, v60
	v_fmac_f32_e32 v38, -0.5, v17
	v_fmac_f32_e32 v24, 0xbf5db3d7, v23
	v_fmac_f32_e32 v65, 0x3f5db3d7, v23
	v_add_f32_e32 v23, v66, v59
	v_fmac_f32_e32 v66, -0.5, v25
	v_add_f32_e32 v12, v12, v16
	v_sub_f32_e32 v16, v15, v16
	v_mov_b32_e32 v15, v38
	v_sub_f32_e32 v26, v77, v78
	v_mov_b32_e32 v25, v66
	v_add_f32_e32 v27, v79, v80
	v_fmac_f32_e32 v15, 0x3f5db3d7, v16
	v_fmac_f32_e32 v38, 0xbf5db3d7, v16
	v_add_f32_e32 v16, v63, v28
	v_fmac_f32_e32 v25, 0x3f5db3d7, v26
	v_fmac_f32_e32 v66, 0xbf5db3d7, v26
	v_add_f32_e32 v26, v39, v79
	v_fma_f32 v39, -0.5, v27, v39
	v_add_f32_e32 v16, v16, v29
	v_add_f32_e32 v17, v28, v29
	v_sub_f32_e32 v27, v61, v62
	v_mov_b32_e32 v28, v39
	v_add_f32_e32 v29, v61, v62
	v_fmac_f32_e32 v28, 0xbf5db3d7, v27
	v_fmac_f32_e32 v39, 0x3f5db3d7, v27
	v_add_f32_e32 v27, v40, v61
	v_fmac_f32_e32 v40, -0.5, v29
	v_sub_f32_e32 v35, v79, v80
	v_mov_b32_e32 v29, v40
	v_fmac_f32_e32 v29, 0x3f5db3d7, v35
	v_fmac_f32_e32 v40, 0xbf5db3d7, v35
	v_mul_u32_u24_e32 v35, 0x210, v73
	v_lshlrev_b32_sdwa v36, v34, v74 dst_sel:DWORD dst_unused:UNUSED_PAD src0_sel:DWORD src1_sel:BYTE_0
	v_add3_u32 v35, 0, v35, v36
	v_add_f32_e32 v13, v13, v18
	v_fma_f32 v18, -0.5, v17, v63
	ds_write2_b64 v35, v[0:1], v[10:11] offset1:22
	ds_write_b64 v35, v[8:9] offset:352
	v_mul_u32_u24_e32 v0, 0x210, v75
	v_lshlrev_b32_sdwa v1, v34, v76 dst_sel:DWORD dst_unused:UNUSED_PAD src0_sel:DWORD src1_sel:BYTE_0
	v_sub_f32_e32 v17, v53, v54
	v_mov_b32_e32 v20, v18
	v_add3_u32 v0, 0, v0, v1
	v_fmac_f32_e32 v20, 0xbf5db3d7, v17
	v_fmac_f32_e32 v18, 0x3f5db3d7, v17
	v_add_f32_e32 v17, v64, v53
	ds_write2_b64 v0, v[12:13], v[14:15] offset1:22
	ds_write_b64 v0, v[37:38] offset:352
	v_mul_u32_u24_e32 v0, 0x210, v32
	v_lshlrev_b32_e32 v1, 3, v33
	v_add_f32_e32 v17, v17, v54
	v_add3_u32 v0, 0, v0, v1
	ds_write2_b64 v0, v[16:17], v[20:21] offset1:22
	ds_write_b64 v0, v[18:19] offset:352
	v_mul_u32_u24_e32 v0, 0x210, v43
	v_lshlrev_b32_e32 v1, 3, v47
	v_add_f32_e32 v22, v22, v78
	v_add_f32_e32 v23, v23, v60
	v_add3_u32 v0, 0, v0, v1
	ds_write2_b64 v0, v[22:23], v[24:25] offset1:22
	ds_write_b64 v0, v[65:66] offset:352
	v_mul_u32_u24_e32 v0, 0x210, v71
	v_lshlrev_b32_e32 v1, 3, v72
	v_add_f32_e32 v26, v26, v80
	v_add_f32_e32 v27, v27, v62
	v_add3_u32 v0, 0, v0, v1
	ds_write2_b64 v0, v[26:27], v[28:29] offset1:22
	ds_write_b64 v0, v[39:40] offset:352
	v_add_u32_e32 v0, 0xffffffbe, v46
	v_cndmask_b32_e32 v29, v0, v46, vcc
	v_lshlrev_b32_e32 v0, 2, v29
	v_mov_b32_e32 v1, 0
	v_lshlrev_b64 v[9:10], 3, v[0:1]
	v_mov_b32_e32 v8, s13
	v_add_co_u32_e32 v17, vcc, s12, v9
	v_mul_lo_u16_sdwa v0, v31, s2 dst_sel:DWORD dst_unused:UNUSED_PAD src0_sel:BYTE_0 src1_sel:DWORD
	v_addc_co_u32_e32 v18, vcc, v8, v10, vcc
	v_lshrrev_b16_e32 v0, 14, v0
	s_waitcnt lgkmcnt(0)
	s_barrier
	global_load_dwordx4 v[9:12], v[17:18], off offset:440
	global_load_dwordx4 v[13:16], v[17:18], off offset:456
	v_mul_lo_u16_e32 v17, 0x42, v0
	v_sub_u16_e32 v43, v31, v17
	v_mov_b32_e32 v17, 5
	v_lshlrev_b32_sdwa v25, v17, v43 dst_sel:DWORD dst_unused:UNUSED_PAD src0_sel:DWORD src1_sel:BYTE_0
	s_mov_b32 s2, 0xf83f
	global_load_dwordx4 v[17:20], v25, s[12:13] offset:440
	global_load_dwordx4 v[21:24], v25, s[12:13] offset:456
	v_mul_u32_u24_sdwa v25, v30, s2 dst_sel:DWORD dst_unused:UNUSED_PAD src0_sel:WORD_0 src1_sel:DWORD
	v_lshrrev_b32_e32 v47, 22, v25
	v_mul_lo_u16_e32 v25, 0x42, v47
	v_sub_u16_e32 v75, v30, v25
	v_lshlrev_b32_e32 v32, 5, v75
	global_load_dwordx4 v[25:28], v32, s[12:13] offset:440
	global_load_dwordx4 v[35:38], v32, s[12:13] offset:456
	ds_read2_b64 v[39:42], v50 offset1:110
	ds_read2_b64 v[51:54], v5 offset0:92 offset1:202
	v_add_u32_e32 v76, 0x1000, v50
	ds_read2_b64 v[55:58], v76 offset0:38 offset1:148
	v_add_u32_e32 v77, 0x1c00, v50
	;; [unrolled: 2-line block ×3, first 2 shown]
	ds_read2_b64 v[63:66], v78 offset0:58 offset1:168
	ds_read2_b32 v[32:33], v3 offset0:112 offset1:113
	ds_read2_b64 v[67:70], v4 offset0:2 offset1:112
	v_add_u32_e32 v79, 0x2c00, v50
	ds_read2_b64 v[71:74], v79 offset0:22 offset1:132
	s_movk_i32 s2, 0x41
	v_cmp_lt_u32_e32 vcc, s2, v46
	v_lshlrev_b32_e32 v29, 3, v29
	s_waitcnt vmcnt(0) lgkmcnt(0)
	s_barrier
	v_mul_u32_u24_e32 v0, 0xa50, v0
	v_mul_f32_e32 v80, v10, v54
	v_mul_f32_e32 v10, v10, v53
	v_fmac_f32_e32 v80, v9, v53
	v_fma_f32 v53, v9, v54, -v10
	v_mul_f32_e32 v54, v12, v58
	v_mul_f32_e32 v9, v12, v57
	v_fmac_f32_e32 v54, v11, v57
	v_fma_f32 v57, v11, v58, -v9
	;; [unrolled: 4-line block ×5, first 2 shown]
	v_mul_f32_e32 v33, v68, v20
	v_mul_f32_e32 v9, v67, v20
	v_add_f32_e32 v10, v54, v58
	v_fmac_f32_e32 v33, v67, v19
	v_fma_f32 v66, v68, v19, -v9
	v_mul_f32_e32 v67, v62, v22
	v_mul_f32_e32 v9, v61, v22
	v_fma_f32 v11, -0.5, v10, v39
	v_fmac_f32_e32 v67, v61, v21
	v_fma_f32 v61, v62, v21, -v9
	v_mul_f32_e32 v62, v72, v24
	v_mul_f32_e32 v9, v71, v24
	v_sub_f32_e32 v10, v53, v60
	v_mov_b32_e32 v13, v11
	v_fmac_f32_e32 v62, v71, v23
	v_fma_f32 v68, v72, v23, -v9
	v_mul_f32_e32 v71, v56, v26
	v_mul_f32_e32 v9, v55, v26
	v_fmac_f32_e32 v13, 0xbf737871, v10
	v_sub_f32_e32 v12, v57, v59
	v_sub_f32_e32 v15, v80, v54
	;; [unrolled: 1-line block ×3, first 2 shown]
	v_fmac_f32_e32 v11, 0x3f737871, v10
	v_fmac_f32_e32 v71, v55, v25
	v_fma_f32 v55, v56, v25, -v9
	v_mul_f32_e32 v56, v70, v28
	v_mul_f32_e32 v9, v69, v28
	v_fmac_f32_e32 v13, 0xbf167918, v12
	v_add_f32_e32 v15, v15, v16
	v_fmac_f32_e32 v11, 0x3f167918, v12
	v_fmac_f32_e32 v56, v69, v27
	v_fma_f32 v69, v70, v27, -v9
	v_mul_f32_e32 v70, v64, v36
	v_mul_f32_e32 v9, v63, v36
	v_fmac_f32_e32 v13, 0x3e9e377a, v15
	v_fmac_f32_e32 v11, 0x3e9e377a, v15
	v_add_f32_e32 v15, v80, v14
	v_fmac_f32_e32 v70, v63, v35
	v_fma_f32 v63, v64, v35, -v9
	v_mul_f32_e32 v9, v73, v38
	v_fma_f32 v15, -0.5, v15, v39
	v_fma_f32 v64, v74, v37, -v9
	v_add_f32_e32 v9, v39, v80
	v_mov_b32_e32 v17, v15
	v_add_f32_e32 v9, v9, v54
	v_fmac_f32_e32 v17, 0x3f737871, v12
	v_fmac_f32_e32 v15, 0xbf737871, v12
	v_add_f32_e32 v12, v57, v59
	v_add_f32_e32 v9, v9, v58
	v_sub_f32_e32 v16, v54, v80
	v_sub_f32_e32 v18, v58, v14
	v_fma_f32 v12, -0.5, v12, v40
	v_add_f32_e32 v9, v9, v14
	v_fmac_f32_e32 v17, 0xbf167918, v10
	v_add_f32_e32 v16, v16, v18
	v_fmac_f32_e32 v15, 0x3f167918, v10
	v_sub_f32_e32 v19, v80, v14
	v_mov_b32_e32 v14, v12
	v_fmac_f32_e32 v17, 0x3e9e377a, v16
	v_fmac_f32_e32 v15, 0x3e9e377a, v16
	v_fmac_f32_e32 v14, 0x3f737871, v19
	v_sub_f32_e32 v20, v54, v58
	v_sub_f32_e32 v16, v53, v57
	;; [unrolled: 1-line block ×3, first 2 shown]
	v_fmac_f32_e32 v12, 0xbf737871, v19
	v_fmac_f32_e32 v14, 0x3f167918, v20
	v_add_f32_e32 v16, v16, v18
	v_fmac_f32_e32 v12, 0xbf167918, v20
	v_fmac_f32_e32 v14, 0x3e9e377a, v16
	v_fmac_f32_e32 v12, 0x3e9e377a, v16
	v_add_f32_e32 v16, v53, v60
	v_fma_f32 v16, -0.5, v16, v40
	v_mov_b32_e32 v18, v16
	v_fmac_f32_e32 v18, 0xbf737871, v20
	v_sub_f32_e32 v21, v57, v53
	v_sub_f32_e32 v22, v59, v60
	v_fmac_f32_e32 v16, 0x3f737871, v20
	v_fmac_f32_e32 v18, 0x3f167918, v19
	v_add_f32_e32 v21, v21, v22
	v_fmac_f32_e32 v16, 0xbf167918, v19
	v_add_f32_e32 v20, v33, v67
	v_fmac_f32_e32 v18, 0x3e9e377a, v21
	v_fmac_f32_e32 v16, 0x3e9e377a, v21
	v_fma_f32 v21, -0.5, v20, v41
	v_sub_f32_e32 v20, v32, v68
	v_mov_b32_e32 v23, v21
	v_fmac_f32_e32 v23, 0xbf737871, v20
	v_sub_f32_e32 v22, v66, v61
	v_sub_f32_e32 v24, v65, v33
	;; [unrolled: 1-line block ×3, first 2 shown]
	v_fmac_f32_e32 v21, 0x3f737871, v20
	v_fmac_f32_e32 v23, 0xbf167918, v22
	v_add_f32_e32 v24, v24, v25
	v_fmac_f32_e32 v21, 0x3f167918, v22
	v_fmac_f32_e32 v23, 0x3e9e377a, v24
	;; [unrolled: 1-line block ×3, first 2 shown]
	v_add_f32_e32 v24, v65, v62
	v_add_f32_e32 v19, v41, v65
	v_fma_f32 v41, -0.5, v24, v41
	v_mov_b32_e32 v25, v41
	v_fmac_f32_e32 v25, 0x3f737871, v22
	v_sub_f32_e32 v24, v33, v65
	v_sub_f32_e32 v26, v67, v62
	v_fmac_f32_e32 v41, 0xbf737871, v22
	v_add_f32_e32 v22, v66, v61
	v_fmac_f32_e32 v25, 0xbf167918, v20
	v_add_f32_e32 v24, v24, v26
	v_fmac_f32_e32 v41, 0x3f167918, v20
	v_fma_f32 v22, -0.5, v22, v42
	v_fmac_f32_e32 v25, 0x3e9e377a, v24
	v_fmac_f32_e32 v41, 0x3e9e377a, v24
	v_sub_f32_e32 v27, v65, v62
	v_mov_b32_e32 v24, v22
	v_add_f32_e32 v19, v19, v33
	v_fmac_f32_e32 v24, 0x3f737871, v27
	v_sub_f32_e32 v28, v33, v67
	v_sub_f32_e32 v26, v32, v66
	;; [unrolled: 1-line block ×3, first 2 shown]
	v_fmac_f32_e32 v22, 0xbf737871, v27
	v_fmac_f32_e32 v24, 0x3f167918, v28
	v_add_f32_e32 v26, v26, v33
	v_fmac_f32_e32 v22, 0xbf167918, v28
	v_fmac_f32_e32 v24, 0x3e9e377a, v26
	;; [unrolled: 1-line block ×3, first 2 shown]
	v_add_f32_e32 v26, v32, v68
	v_add_f32_e32 v20, v42, v32
	v_fmac_f32_e32 v42, -0.5, v26
	v_mov_b32_e32 v26, v42
	v_fmac_f32_e32 v26, 0xbf737871, v28
	v_sub_f32_e32 v32, v66, v32
	v_sub_f32_e32 v33, v61, v68
	v_fmac_f32_e32 v42, 0x3f737871, v28
	v_fmac_f32_e32 v26, 0x3f167918, v27
	v_add_f32_e32 v32, v32, v33
	v_fmac_f32_e32 v42, 0xbf167918, v27
	v_add_f32_e32 v28, v56, v70
	v_mul_f32_e32 v36, v74, v38
	v_fmac_f32_e32 v26, 0x3e9e377a, v32
	v_fmac_f32_e32 v42, 0x3e9e377a, v32
	v_fma_f32 v32, -0.5, v28, v51
	v_fmac_f32_e32 v36, v73, v37
	v_sub_f32_e32 v28, v55, v64
	v_mov_b32_e32 v35, v32
	v_fmac_f32_e32 v35, 0xbf737871, v28
	v_sub_f32_e32 v33, v69, v63
	v_sub_f32_e32 v37, v71, v56
	;; [unrolled: 1-line block ×3, first 2 shown]
	v_fmac_f32_e32 v32, 0x3f737871, v28
	v_fmac_f32_e32 v35, 0xbf167918, v33
	v_add_f32_e32 v37, v37, v38
	v_fmac_f32_e32 v32, 0x3f167918, v33
	v_fmac_f32_e32 v35, 0x3e9e377a, v37
	;; [unrolled: 1-line block ×3, first 2 shown]
	v_add_f32_e32 v37, v71, v36
	v_add_f32_e32 v27, v51, v71
	v_fma_f32 v51, -0.5, v37, v51
	v_mov_b32_e32 v37, v51
	v_add_f32_e32 v27, v27, v56
	v_fmac_f32_e32 v37, 0x3f737871, v33
	v_fmac_f32_e32 v51, 0xbf737871, v33
	v_add_f32_e32 v33, v69, v63
	v_add_f32_e32 v27, v27, v70
	v_sub_f32_e32 v38, v56, v71
	v_sub_f32_e32 v39, v70, v36
	v_fma_f32 v33, -0.5, v33, v52
	v_add_f32_e32 v27, v27, v36
	v_fmac_f32_e32 v37, 0xbf167918, v28
	v_add_f32_e32 v38, v38, v39
	v_fmac_f32_e32 v51, 0x3f167918, v28
	v_sub_f32_e32 v39, v71, v36
	v_mov_b32_e32 v36, v33
	v_add_f32_e32 v10, v40, v53
	v_fmac_f32_e32 v37, 0x3e9e377a, v38
	v_fmac_f32_e32 v51, 0x3e9e377a, v38
	v_fmac_f32_e32 v36, 0x3f737871, v39
	v_sub_f32_e32 v40, v56, v70
	v_sub_f32_e32 v38, v55, v69
	;; [unrolled: 1-line block ×3, first 2 shown]
	v_fmac_f32_e32 v33, 0xbf737871, v39
	v_fmac_f32_e32 v36, 0x3f167918, v40
	v_add_f32_e32 v38, v38, v53
	v_fmac_f32_e32 v33, 0xbf167918, v40
	v_fmac_f32_e32 v36, 0x3e9e377a, v38
	;; [unrolled: 1-line block ×3, first 2 shown]
	v_add_f32_e32 v38, v55, v64
	v_add_f32_e32 v28, v52, v55
	v_fmac_f32_e32 v52, -0.5, v38
	v_mov_b32_e32 v38, v52
	v_fmac_f32_e32 v38, 0xbf737871, v40
	v_fmac_f32_e32 v52, 0x3f737871, v40
	v_add_f32_e32 v10, v10, v57
	v_fmac_f32_e32 v38, 0x3f167918, v39
	v_fmac_f32_e32 v52, 0xbf167918, v39
	v_mov_b32_e32 v39, 0xa50
	v_add_f32_e32 v10, v10, v59
	v_cndmask_b32_e32 v39, 0, v39, vcc
	v_add_f32_e32 v10, v10, v60
	v_add_f32_e32 v20, v20, v66
	v_add3_u32 v29, 0, v39, v29
	v_add_f32_e32 v19, v19, v67
	v_add_f32_e32 v20, v20, v61
	ds_write2_b64 v29, v[9:10], v[13:14] offset1:66
	ds_write2_b64 v29, v[17:18], v[15:16] offset0:132 offset1:198
	ds_write_b64 v29, v[11:12] offset:2112
	v_lshlrev_b32_sdwa v9, v34, v43 dst_sel:DWORD dst_unused:UNUSED_PAD src0_sel:DWORD src1_sel:BYTE_0
	v_add_f32_e32 v19, v19, v62
	v_add_f32_e32 v20, v20, v68
	;; [unrolled: 1-line block ×3, first 2 shown]
	v_add3_u32 v0, 0, v0, v9
	v_add_f32_e32 v28, v28, v63
	v_sub_f32_e32 v53, v69, v55
	v_sub_f32_e32 v54, v63, v64
	ds_write2_b64 v0, v[19:20], v[23:24] offset1:66
	ds_write2_b64 v0, v[25:26], v[41:42] offset0:132 offset1:198
	ds_write_b64 v0, v[21:22] offset:2112
	v_mul_u32_u24_e32 v0, 0xa50, v47
	v_lshlrev_b32_e32 v9, 3, v75
	v_add_f32_e32 v28, v28, v64
	v_add_f32_e32 v53, v53, v54
	v_add3_u32 v0, 0, v0, v9
	v_fmac_f32_e32 v38, 0x3e9e377a, v53
	v_fmac_f32_e32 v52, 0x3e9e377a, v53
	ds_write2_b64 v0, v[27:28], v[35:36] offset1:66
	ds_write2_b64 v0, v[37:38], v[51:52] offset0:132 offset1:198
	ds_write_b64 v0, v[32:33] offset:2112
	v_lshlrev_b32_e32 v0, 2, v46
	v_lshlrev_b64 v[9:10], 3, v[0:1]
	v_lshlrev_b32_e32 v0, 2, v31
	v_add_co_u32_e32 v17, vcc, s12, v9
	v_addc_co_u32_e32 v18, vcc, v8, v10, vcc
	s_waitcnt lgkmcnt(0)
	s_barrier
	global_load_dwordx4 v[9:12], v[17:18], off offset:2552
	global_load_dwordx4 v[13:16], v[17:18], off offset:2568
	v_lshlrev_b64 v[17:18], 3, v[0:1]
	v_lshlrev_b32_e32 v0, 2, v30
	v_add_co_u32_e32 v25, vcc, s12, v17
	v_addc_co_u32_e32 v26, vcc, v8, v18, vcc
	global_load_dwordx4 v[17:20], v[25:26], off offset:2552
	global_load_dwordx4 v[21:24], v[25:26], off offset:2568
	v_lshlrev_b64 v[25:26], 3, v[0:1]
	v_add_co_u32_e32 v33, vcc, s12, v25
	v_addc_co_u32_e32 v34, vcc, v8, v26, vcc
	global_load_dwordx4 v[25:28], v[33:34], off offset:2552
	global_load_dwordx4 v[29:32], v[33:34], off offset:2568
	ds_read2_b64 v[33:36], v50 offset1:110
	ds_read2_b64 v[37:40], v5 offset0:92 offset1:202
	ds_read2_b64 v[51:54], v76 offset0:38 offset1:148
	;; [unrolled: 1-line block ×4, first 2 shown]
	ds_read2_b32 v[41:42], v3 offset0:112 offset1:113
	ds_read2_b64 v[63:66], v4 offset0:2 offset1:112
	ds_read2_b64 v[67:70], v79 offset0:22 offset1:132
	s_waitcnt vmcnt(0) lgkmcnt(0)
	s_barrier
	v_mul_f32_e32 v0, v10, v40
	v_mul_f32_e32 v8, v10, v39
	v_fmac_f32_e32 v0, v9, v39
	v_fma_f32 v39, v9, v40, -v8
	v_mul_f32_e32 v8, v12, v53
	v_mul_f32_e32 v40, v12, v54
	v_fma_f32 v43, v11, v54, -v8
	v_mul_f32_e32 v8, v14, v55
	v_fmac_f32_e32 v40, v11, v53
	v_mul_f32_e32 v47, v14, v56
	v_fma_f32 v53, v13, v56, -v8
	v_mul_f32_e32 v8, v16, v61
	v_fmac_f32_e32 v47, v13, v55
	v_fma_f32 v54, v15, v62, -v8
	v_mul_f32_e32 v55, v42, v18
	v_mul_f32_e32 v8, v18, v41
	;; [unrolled: 1-line block ×3, first 2 shown]
	v_fmac_f32_e32 v55, v17, v41
	v_fma_f32 v41, v42, v17, -v8
	v_mul_f32_e32 v8, v63, v20
	v_add_f32_e32 v9, v40, v47
	v_fmac_f32_e32 v13, v15, v61
	v_fma_f32 v56, v64, v19, -v8
	v_mul_f32_e32 v61, v58, v22
	v_mul_f32_e32 v8, v57, v22
	v_fma_f32 v10, -0.5, v9, v33
	v_mul_f32_e32 v42, v64, v20
	v_fmac_f32_e32 v61, v57, v21
	v_fma_f32 v57, v58, v21, -v8
	v_mul_f32_e32 v8, v67, v24
	v_sub_f32_e32 v9, v39, v54
	v_mov_b32_e32 v12, v10
	v_fmac_f32_e32 v42, v63, v19
	v_fma_f32 v62, v68, v23, -v8
	v_mul_f32_e32 v63, v52, v26
	v_mul_f32_e32 v8, v51, v26
	v_fmac_f32_e32 v12, 0xbf737871, v9
	v_sub_f32_e32 v11, v43, v53
	v_sub_f32_e32 v14, v0, v40
	;; [unrolled: 1-line block ×3, first 2 shown]
	v_fmac_f32_e32 v10, 0x3f737871, v9
	v_fmac_f32_e32 v63, v51, v25
	v_fma_f32 v51, v52, v25, -v8
	v_mul_f32_e32 v52, v66, v28
	v_mul_f32_e32 v8, v65, v28
	v_fmac_f32_e32 v12, 0xbf167918, v11
	v_add_f32_e32 v14, v14, v15
	v_fmac_f32_e32 v10, 0x3f167918, v11
	v_fmac_f32_e32 v52, v65, v27
	v_fma_f32 v64, v66, v27, -v8
	v_mul_f32_e32 v65, v60, v30
	v_mul_f32_e32 v8, v59, v30
	v_fmac_f32_e32 v12, 0x3e9e377a, v14
	v_fmac_f32_e32 v10, 0x3e9e377a, v14
	v_add_f32_e32 v14, v0, v13
	v_fmac_f32_e32 v65, v59, v29
	v_fma_f32 v59, v60, v29, -v8
	v_mul_f32_e32 v8, v69, v32
	v_fma_f32 v14, -0.5, v14, v33
	v_fma_f32 v66, v70, v31, -v8
	v_add_f32_e32 v8, v33, v0
	v_mov_b32_e32 v16, v14
	v_add_f32_e32 v8, v8, v40
	v_fmac_f32_e32 v16, 0x3f737871, v11
	v_fmac_f32_e32 v14, 0xbf737871, v11
	v_add_f32_e32 v11, v43, v53
	v_add_f32_e32 v8, v8, v47
	v_sub_f32_e32 v15, v40, v0
	v_sub_f32_e32 v17, v47, v13
	v_fma_f32 v11, -0.5, v11, v34
	v_add_f32_e32 v8, v8, v13
	v_fmac_f32_e32 v16, 0xbf167918, v9
	v_add_f32_e32 v15, v15, v17
	v_fmac_f32_e32 v14, 0x3f167918, v9
	v_sub_f32_e32 v0, v0, v13
	v_mov_b32_e32 v13, v11
	v_fmac_f32_e32 v16, 0x3e9e377a, v15
	v_fmac_f32_e32 v14, 0x3e9e377a, v15
	;; [unrolled: 1-line block ×3, first 2 shown]
	v_sub_f32_e32 v18, v40, v47
	v_sub_f32_e32 v15, v39, v43
	;; [unrolled: 1-line block ×3, first 2 shown]
	v_fmac_f32_e32 v11, 0xbf737871, v0
	v_fmac_f32_e32 v13, 0x3f167918, v18
	v_add_f32_e32 v15, v15, v17
	v_fmac_f32_e32 v11, 0xbf167918, v18
	v_fmac_f32_e32 v13, 0x3e9e377a, v15
	;; [unrolled: 1-line block ×3, first 2 shown]
	v_add_f32_e32 v15, v39, v54
	v_fma_f32 v15, -0.5, v15, v34
	v_mov_b32_e32 v17, v15
	v_fmac_f32_e32 v17, 0xbf737871, v18
	v_fmac_f32_e32 v15, 0x3f737871, v18
	;; [unrolled: 1-line block ×4, first 2 shown]
	v_add_f32_e32 v0, v35, v55
	v_mul_f32_e32 v58, v68, v24
	v_add_f32_e32 v0, v0, v42
	v_fmac_f32_e32 v58, v67, v23
	v_add_f32_e32 v0, v0, v61
	v_sub_f32_e32 v19, v43, v39
	v_sub_f32_e32 v20, v53, v54
	v_add_f32_e32 v18, v0, v58
	v_add_f32_e32 v0, v42, v61
	;; [unrolled: 1-line block ×3, first 2 shown]
	v_fma_f32 v20, -0.5, v0, v35
	v_sub_f32_e32 v0, v41, v62
	v_mov_b32_e32 v22, v20
	v_fmac_f32_e32 v17, 0x3e9e377a, v19
	v_fmac_f32_e32 v15, 0x3e9e377a, v19
	;; [unrolled: 1-line block ×3, first 2 shown]
	v_sub_f32_e32 v19, v56, v57
	v_sub_f32_e32 v21, v55, v42
	;; [unrolled: 1-line block ×3, first 2 shown]
	v_fmac_f32_e32 v20, 0x3f737871, v0
	v_fmac_f32_e32 v22, 0xbf167918, v19
	v_add_f32_e32 v21, v21, v23
	v_fmac_f32_e32 v20, 0x3f167918, v19
	v_fmac_f32_e32 v22, 0x3e9e377a, v21
	;; [unrolled: 1-line block ×3, first 2 shown]
	v_add_f32_e32 v21, v55, v58
	v_fma_f32 v35, -0.5, v21, v35
	v_mov_b32_e32 v24, v35
	v_fmac_f32_e32 v24, 0x3f737871, v19
	v_fmac_f32_e32 v35, 0xbf737871, v19
	;; [unrolled: 1-line block ×4, first 2 shown]
	v_add_f32_e32 v0, v36, v41
	v_add_f32_e32 v0, v0, v56
	v_sub_f32_e32 v21, v42, v55
	v_sub_f32_e32 v23, v61, v58
	v_add_f32_e32 v0, v0, v57
	v_add_f32_e32 v21, v21, v23
	;; [unrolled: 1-line block ×4, first 2 shown]
	v_fmac_f32_e32 v24, 0x3e9e377a, v21
	v_fmac_f32_e32 v35, 0x3e9e377a, v21
	v_fma_f32 v21, -0.5, v0, v36
	v_sub_f32_e32 v0, v55, v58
	v_mov_b32_e32 v23, v21
	v_fmac_f32_e32 v23, 0x3f737871, v0
	v_sub_f32_e32 v26, v42, v61
	v_sub_f32_e32 v25, v41, v56
	;; [unrolled: 1-line block ×3, first 2 shown]
	v_fmac_f32_e32 v21, 0xbf737871, v0
	v_fmac_f32_e32 v23, 0x3f167918, v26
	v_add_f32_e32 v25, v25, v27
	v_fmac_f32_e32 v21, 0xbf167918, v26
	v_fmac_f32_e32 v23, 0x3e9e377a, v25
	;; [unrolled: 1-line block ×3, first 2 shown]
	v_add_f32_e32 v25, v41, v62
	v_fmac_f32_e32 v36, -0.5, v25
	v_mov_b32_e32 v25, v36
	v_fmac_f32_e32 v25, 0xbf737871, v26
	v_fmac_f32_e32 v36, 0x3f737871, v26
	;; [unrolled: 1-line block ×4, first 2 shown]
	v_add_f32_e32 v0, v37, v63
	v_mul_f32_e32 v60, v70, v32
	v_add_f32_e32 v0, v0, v52
	v_fmac_f32_e32 v60, v69, v31
	v_add_f32_e32 v0, v0, v65
	v_sub_f32_e32 v27, v56, v41
	v_sub_f32_e32 v28, v57, v62
	v_add_f32_e32 v26, v0, v60
	v_add_f32_e32 v0, v52, v65
	;; [unrolled: 1-line block ×3, first 2 shown]
	v_fma_f32 v28, -0.5, v0, v37
	v_sub_f32_e32 v0, v51, v66
	v_mov_b32_e32 v30, v28
	v_fmac_f32_e32 v25, 0x3e9e377a, v27
	v_fmac_f32_e32 v36, 0x3e9e377a, v27
	;; [unrolled: 1-line block ×3, first 2 shown]
	v_sub_f32_e32 v27, v64, v59
	v_sub_f32_e32 v29, v63, v52
	;; [unrolled: 1-line block ×3, first 2 shown]
	v_fmac_f32_e32 v28, 0x3f737871, v0
	v_fmac_f32_e32 v30, 0xbf167918, v27
	v_add_f32_e32 v29, v29, v31
	v_fmac_f32_e32 v28, 0x3f167918, v27
	v_fmac_f32_e32 v30, 0x3e9e377a, v29
	;; [unrolled: 1-line block ×3, first 2 shown]
	v_add_f32_e32 v29, v63, v60
	v_fma_f32 v37, -0.5, v29, v37
	v_mov_b32_e32 v32, v37
	v_fmac_f32_e32 v32, 0x3f737871, v27
	v_fmac_f32_e32 v37, 0xbf737871, v27
	;; [unrolled: 1-line block ×4, first 2 shown]
	v_add_f32_e32 v0, v38, v51
	v_add_f32_e32 v0, v0, v64
	v_sub_f32_e32 v29, v52, v63
	v_sub_f32_e32 v31, v65, v60
	v_add_f32_e32 v0, v0, v59
	v_add_f32_e32 v29, v29, v31
	;; [unrolled: 1-line block ×4, first 2 shown]
	v_fmac_f32_e32 v32, 0x3e9e377a, v29
	v_fmac_f32_e32 v37, 0x3e9e377a, v29
	v_fma_f32 v29, -0.5, v0, v38
	v_sub_f32_e32 v0, v63, v60
	v_mov_b32_e32 v31, v29
	v_add_f32_e32 v9, v34, v39
	v_fmac_f32_e32 v31, 0x3f737871, v0
	v_sub_f32_e32 v34, v52, v65
	v_sub_f32_e32 v33, v51, v64
	;; [unrolled: 1-line block ×3, first 2 shown]
	v_fmac_f32_e32 v29, 0xbf737871, v0
	v_fmac_f32_e32 v31, 0x3f167918, v34
	v_add_f32_e32 v33, v33, v39
	v_fmac_f32_e32 v29, 0xbf167918, v34
	v_fmac_f32_e32 v31, 0x3e9e377a, v33
	;; [unrolled: 1-line block ×3, first 2 shown]
	v_add_f32_e32 v33, v51, v66
	v_fmac_f32_e32 v38, -0.5, v33
	v_add_f32_e32 v9, v9, v43
	v_mov_b32_e32 v33, v38
	v_add_f32_e32 v9, v9, v53
	v_fmac_f32_e32 v33, 0xbf737871, v34
	v_sub_f32_e32 v39, v64, v51
	v_sub_f32_e32 v40, v59, v66
	v_fmac_f32_e32 v38, 0x3f737871, v34
	v_add_f32_e32 v9, v9, v54
	v_fmac_f32_e32 v33, 0x3f167918, v0
	v_add_f32_e32 v39, v39, v40
	v_fmac_f32_e32 v38, 0xbf167918, v0
	v_fmac_f32_e32 v33, 0x3e9e377a, v39
	;; [unrolled: 1-line block ×3, first 2 shown]
	ds_write2_b64 v50, v[8:9], v[18:19] offset1:110
	ds_write2_b64 v7, v[16:17], v[24:25] offset0:20 offset1:130
	ds_write2_b64 v6, v[10:11], v[20:21] offset0:40 offset1:150
	;; [unrolled: 1-line block ×6, first 2 shown]
	ds_write_b64 v50, v[28:29] offset:12320
	s_waitcnt lgkmcnt(0)
	s_barrier
	s_and_saveexec_b64 s[2:3], s[0:1]
	s_cbranch_execz .LBB0_29
; %bb.28:
	v_mul_lo_u32 v0, s5, v48
	v_mul_lo_u32 v2, s4, v49
	v_mad_u64_u32 v[6:7], s[0:1], s4, v48, 0
	v_lshl_add_u32 v8, v46, 3, 0
	v_mov_b32_e32 v47, v1
	v_add3_u32 v7, v7, v2, v0
	v_lshlrev_b64 v[6:7], 3, v[6:7]
	v_mov_b32_e32 v0, s11
	v_add_co_u32_e32 v9, vcc, s10, v6
	v_addc_co_u32_e32 v0, vcc, v0, v7, vcc
	v_lshlrev_b64 v[6:7], 3, v[44:45]
	ds_read2_b64 v[2:5], v8 offset1:110
	v_add_co_u32_e32 v9, vcc, v9, v6
	v_addc_co_u32_e32 v10, vcc, v0, v7, vcc
	v_lshlrev_b64 v[6:7], 3, v[46:47]
	v_add_u32_e32 v0, 0x6e, v46
	v_add_co_u32_e32 v6, vcc, v9, v6
	v_addc_co_u32_e32 v7, vcc, v10, v7, vcc
	s_waitcnt lgkmcnt(0)
	global_store_dwordx2 v[6:7], v[2:3], off
	v_lshlrev_b64 v[2:3], 3, v[0:1]
	v_add_u32_e32 v0, 0xdc, v46
	v_add_co_u32_e32 v2, vcc, v9, v2
	v_addc_co_u32_e32 v3, vcc, v10, v3, vcc
	global_store_dwordx2 v[2:3], v[4:5], off
	v_add_u32_e32 v2, 0x400, v8
	ds_read2_b64 v[2:5], v2 offset0:92 offset1:202
	v_lshlrev_b64 v[6:7], 3, v[0:1]
	v_add_u32_e32 v0, 0x14a, v46
	v_add_co_u32_e32 v6, vcc, v9, v6
	v_addc_co_u32_e32 v7, vcc, v10, v7, vcc
	s_waitcnt lgkmcnt(0)
	global_store_dwordx2 v[6:7], v[2:3], off
	v_lshlrev_b64 v[2:3], 3, v[0:1]
	v_add_u32_e32 v0, 0x1b8, v46
	v_add_co_u32_e32 v2, vcc, v9, v2
	v_addc_co_u32_e32 v3, vcc, v10, v3, vcc
	global_store_dwordx2 v[2:3], v[4:5], off
	v_add_u32_e32 v2, 0xc00, v8
	ds_read2_b64 v[2:5], v2 offset0:56 offset1:166
	;; [unrolled: 13-line block ×6, first 2 shown]
	v_lshlrev_b64 v[6:7], 3, v[0:1]
	v_add_u32_e32 v0, 0x596, v46
	v_add_co_u32_e32 v6, vcc, v9, v6
	v_addc_co_u32_e32 v7, vcc, v10, v7, vcc
	s_waitcnt lgkmcnt(0)
	global_store_dwordx2 v[6:7], v[2:3], off
	v_lshlrev_b64 v[2:3], 3, v[0:1]
	v_add_u32_e32 v0, 0x604, v46
	v_add_co_u32_e32 v2, vcc, v9, v2
	v_addc_co_u32_e32 v3, vcc, v10, v3, vcc
	global_store_dwordx2 v[2:3], v[4:5], off
	ds_read_b64 v[2:3], v8 offset:12320
	v_lshlrev_b64 v[0:1], 3, v[0:1]
	v_add_co_u32_e32 v0, vcc, v9, v0
	v_addc_co_u32_e32 v1, vcc, v10, v1, vcc
	s_waitcnt lgkmcnt(0)
	global_store_dwordx2 v[0:1], v[2:3], off
.LBB0_29:
	s_endpgm
	.section	.rodata,"a",@progbits
	.p2align	6, 0x0
	.amdhsa_kernel fft_rtc_back_len1650_factors_11_2_3_5_5_wgs_110_tpt_110_halfLds_sp_op_CI_CI_unitstride_sbrr_C2R_dirReg
		.amdhsa_group_segment_fixed_size 0
		.amdhsa_private_segment_fixed_size 0
		.amdhsa_kernarg_size 104
		.amdhsa_user_sgpr_count 6
		.amdhsa_user_sgpr_private_segment_buffer 1
		.amdhsa_user_sgpr_dispatch_ptr 0
		.amdhsa_user_sgpr_queue_ptr 0
		.amdhsa_user_sgpr_kernarg_segment_ptr 1
		.amdhsa_user_sgpr_dispatch_id 0
		.amdhsa_user_sgpr_flat_scratch_init 0
		.amdhsa_user_sgpr_private_segment_size 0
		.amdhsa_uses_dynamic_stack 0
		.amdhsa_system_sgpr_private_segment_wavefront_offset 0
		.amdhsa_system_sgpr_workgroup_id_x 1
		.amdhsa_system_sgpr_workgroup_id_y 0
		.amdhsa_system_sgpr_workgroup_id_z 0
		.amdhsa_system_sgpr_workgroup_info 0
		.amdhsa_system_vgpr_workitem_id 0
		.amdhsa_next_free_vgpr 118
		.amdhsa_next_free_sgpr 28
		.amdhsa_reserve_vcc 1
		.amdhsa_reserve_flat_scratch 0
		.amdhsa_float_round_mode_32 0
		.amdhsa_float_round_mode_16_64 0
		.amdhsa_float_denorm_mode_32 3
		.amdhsa_float_denorm_mode_16_64 3
		.amdhsa_dx10_clamp 1
		.amdhsa_ieee_mode 1
		.amdhsa_fp16_overflow 0
		.amdhsa_exception_fp_ieee_invalid_op 0
		.amdhsa_exception_fp_denorm_src 0
		.amdhsa_exception_fp_ieee_div_zero 0
		.amdhsa_exception_fp_ieee_overflow 0
		.amdhsa_exception_fp_ieee_underflow 0
		.amdhsa_exception_fp_ieee_inexact 0
		.amdhsa_exception_int_div_zero 0
	.end_amdhsa_kernel
	.text
.Lfunc_end0:
	.size	fft_rtc_back_len1650_factors_11_2_3_5_5_wgs_110_tpt_110_halfLds_sp_op_CI_CI_unitstride_sbrr_C2R_dirReg, .Lfunc_end0-fft_rtc_back_len1650_factors_11_2_3_5_5_wgs_110_tpt_110_halfLds_sp_op_CI_CI_unitstride_sbrr_C2R_dirReg
                                        ; -- End function
	.section	.AMDGPU.csdata,"",@progbits
; Kernel info:
; codeLenInByte = 13352
; NumSgprs: 32
; NumVgprs: 118
; ScratchSize: 0
; MemoryBound: 0
; FloatMode: 240
; IeeeMode: 1
; LDSByteSize: 0 bytes/workgroup (compile time only)
; SGPRBlocks: 3
; VGPRBlocks: 29
; NumSGPRsForWavesPerEU: 32
; NumVGPRsForWavesPerEU: 118
; Occupancy: 2
; WaveLimiterHint : 1
; COMPUTE_PGM_RSRC2:SCRATCH_EN: 0
; COMPUTE_PGM_RSRC2:USER_SGPR: 6
; COMPUTE_PGM_RSRC2:TRAP_HANDLER: 0
; COMPUTE_PGM_RSRC2:TGID_X_EN: 1
; COMPUTE_PGM_RSRC2:TGID_Y_EN: 0
; COMPUTE_PGM_RSRC2:TGID_Z_EN: 0
; COMPUTE_PGM_RSRC2:TIDIG_COMP_CNT: 0
	.type	__hip_cuid_772caa20c0965c94,@object ; @__hip_cuid_772caa20c0965c94
	.section	.bss,"aw",@nobits
	.globl	__hip_cuid_772caa20c0965c94
__hip_cuid_772caa20c0965c94:
	.byte	0                               ; 0x0
	.size	__hip_cuid_772caa20c0965c94, 1

	.ident	"AMD clang version 19.0.0git (https://github.com/RadeonOpenCompute/llvm-project roc-6.4.0 25133 c7fe45cf4b819c5991fe208aaa96edf142730f1d)"
	.section	".note.GNU-stack","",@progbits
	.addrsig
	.addrsig_sym __hip_cuid_772caa20c0965c94
	.amdgpu_metadata
---
amdhsa.kernels:
  - .args:
      - .actual_access:  read_only
        .address_space:  global
        .offset:         0
        .size:           8
        .value_kind:     global_buffer
      - .offset:         8
        .size:           8
        .value_kind:     by_value
      - .actual_access:  read_only
        .address_space:  global
        .offset:         16
        .size:           8
        .value_kind:     global_buffer
      - .actual_access:  read_only
        .address_space:  global
        .offset:         24
        .size:           8
        .value_kind:     global_buffer
      - .actual_access:  read_only
        .address_space:  global
        .offset:         32
        .size:           8
        .value_kind:     global_buffer
      - .offset:         40
        .size:           8
        .value_kind:     by_value
      - .actual_access:  read_only
        .address_space:  global
        .offset:         48
        .size:           8
        .value_kind:     global_buffer
      - .actual_access:  read_only
        .address_space:  global
        .offset:         56
        .size:           8
        .value_kind:     global_buffer
      - .offset:         64
        .size:           4
        .value_kind:     by_value
      - .actual_access:  read_only
        .address_space:  global
        .offset:         72
        .size:           8
        .value_kind:     global_buffer
      - .actual_access:  read_only
        .address_space:  global
        .offset:         80
        .size:           8
        .value_kind:     global_buffer
      - .actual_access:  read_only
        .address_space:  global
        .offset:         88
        .size:           8
        .value_kind:     global_buffer
      - .actual_access:  write_only
        .address_space:  global
        .offset:         96
        .size:           8
        .value_kind:     global_buffer
    .group_segment_fixed_size: 0
    .kernarg_segment_align: 8
    .kernarg_segment_size: 104
    .language:       OpenCL C
    .language_version:
      - 2
      - 0
    .max_flat_workgroup_size: 110
    .name:           fft_rtc_back_len1650_factors_11_2_3_5_5_wgs_110_tpt_110_halfLds_sp_op_CI_CI_unitstride_sbrr_C2R_dirReg
    .private_segment_fixed_size: 0
    .sgpr_count:     32
    .sgpr_spill_count: 0
    .symbol:         fft_rtc_back_len1650_factors_11_2_3_5_5_wgs_110_tpt_110_halfLds_sp_op_CI_CI_unitstride_sbrr_C2R_dirReg.kd
    .uniform_work_group_size: 1
    .uses_dynamic_stack: false
    .vgpr_count:     118
    .vgpr_spill_count: 0
    .wavefront_size: 64
amdhsa.target:   amdgcn-amd-amdhsa--gfx906
amdhsa.version:
  - 1
  - 2
...

	.end_amdgpu_metadata
